;; amdgpu-corpus repo=ROCm/rocFFT kind=compiled arch=gfx1201 opt=O3
	.text
	.amdgcn_target "amdgcn-amd-amdhsa--gfx1201"
	.amdhsa_code_object_version 6
	.protected	bluestein_single_fwd_len1445_dim1_dp_op_CI_CI ; -- Begin function bluestein_single_fwd_len1445_dim1_dp_op_CI_CI
	.globl	bluestein_single_fwd_len1445_dim1_dp_op_CI_CI
	.p2align	8
	.type	bluestein_single_fwd_len1445_dim1_dp_op_CI_CI,@function
bluestein_single_fwd_len1445_dim1_dp_op_CI_CI: ; @bluestein_single_fwd_len1445_dim1_dp_op_CI_CI
; %bb.0:
	s_load_b128 s[16:19], s[0:1], 0x28
	v_mul_u32_u24_e32 v1, 0x304, v0
	s_mov_b32 s2, exec_lo
	v_mov_b32_e32 v5, 0
	s_delay_alu instid0(VALU_DEP_2) | instskip(NEXT) | instid1(VALU_DEP_1)
	v_lshrrev_b32_e32 v1, 16, v1
	v_add_nc_u32_e32 v4, ttmp9, v1
	s_wait_kmcnt 0x0
	s_delay_alu instid0(VALU_DEP_1)
	v_cmpx_gt_u64_e64 s[16:17], v[4:5]
	s_cbranch_execz .LBB0_10
; %bb.1:
	s_clause 0x1
	s_load_b128 s[4:7], s[0:1], 0x18
	s_load_b128 s[8:11], s[0:1], 0x0
	v_mul_lo_u16 v1, 0x55, v1
	s_mov_b32 s34, 0x5d8e7cdc
	s_mov_b32 s40, 0x2a9d6da3
	;; [unrolled: 1-line block ×4, first 2 shown]
	v_sub_nc_u16 v40, v0, v1
	s_mov_b32 s26, 0x923c349f
	s_mov_b32 s28, 0x6c9a05f6
	;; [unrolled: 1-line block ×4, first 2 shown]
	v_and_b32_e32 v63, 0xffff, v40
	v_mov_b32_e32 v5, v4
	s_mov_b32 s35, 0xbfd71e95
	s_mov_b32 s41, 0xbfe58eea
	;; [unrolled: 1-line block ×3, first 2 shown]
	v_lshlrev_b32_e32 v62, 4, v63
	scratch_store_b64 off, v[5:6], off offset:112 ; 8-byte Folded Spill
	s_mov_b32 s39, 0xbfefdd0d
	s_wait_kmcnt 0x0
	s_load_b128 s[12:15], s[4:5], 0x0
	s_mov_b32 s27, 0xbfeec746
	s_mov_b32 s29, 0xbfe9895b
	;; [unrolled: 1-line block ×19, first 2 shown]
	s_wait_kmcnt 0x0
	v_mad_co_u64_u32 v[0:1], null, s14, v4, 0
	v_mad_co_u64_u32 v[2:3], null, s12, v63, 0
	s_mul_u64 s[2:3], s[12:13], 0x550
	s_mov_b32 s46, s34
	s_mov_b32 s49, 0x3fc7851a
	s_mov_b32 s48, s36
	s_mov_b32 s53, 0x3fe9895b
	s_mov_b32 s52, s28
	s_delay_alu instid0(VALU_DEP_1) | instskip(SKIP_3) | instid1(VALU_DEP_1)
	v_mad_co_u64_u32 v[4:5], null, s15, v4, v[1:2]
	s_mov_b32 s14, 0xc61f0d01
	s_mov_b32 s15, 0xbfd183b1
	s_load_b64 s[0:1], s[0:1], 0x38
	v_mad_co_u64_u32 v[5:6], null, s13, v63, v[3:4]
	v_mov_b32_e32 v1, v4
	s_mov_b32 s12, 0x2b2883cd
	s_mov_b32 s13, 0x3fdc86fa
	s_delay_alu instid0(VALU_DEP_1) | instskip(NEXT) | instid1(VALU_DEP_3)
	v_lshlrev_b64_e32 v[0:1], 4, v[0:1]
	v_mov_b32_e32 v3, v5
	s_delay_alu instid0(VALU_DEP_2) | instskip(NEXT) | instid1(VALU_DEP_2)
	v_add_co_u32 v0, vcc_lo, s18, v0
	v_lshlrev_b64_e32 v[2:3], 4, v[2:3]
	s_delay_alu instid0(VALU_DEP_4) | instskip(SKIP_2) | instid1(VALU_DEP_2)
	v_add_co_ci_u32_e32 v1, vcc_lo, s19, v1, vcc_lo
	s_mov_b32 s18, 0x7faef3
	s_mov_b32 s19, 0xbfef7484
	v_add_co_u32 v4, vcc_lo, v0, v2
	s_wait_alu 0xfffd
	v_add_co_ci_u32_e32 v5, vcc_lo, v1, v3, vcc_lo
	global_load_b128 v[22:25], v62, s[8:9]
	global_load_b128 v[0:3], v[4:5], off
	v_add_co_u32 v8, vcc_lo, v4, s2
	s_wait_alu 0xfffd
	v_add_co_ci_u32_e32 v9, vcc_lo, s3, v5, vcc_lo
	global_load_b128 v[26:29], v62, s[8:9] offset:1360
	global_load_b128 v[4:7], v[8:9], off
	v_add_co_u32 v12, vcc_lo, v8, s2
	s_wait_alu 0xfffd
	v_add_co_ci_u32_e32 v13, vcc_lo, s3, v9, vcc_lo
	global_load_b128 v[18:21], v62, s[8:9] offset:2720
	global_load_b128 v[8:11], v[12:13], off
	s_wait_loadcnt 0x5
	scratch_store_b128 off, v[22:25], off offset:236 ; 16-byte Folded Spill
	s_wait_loadcnt 0x4
	v_mul_f64_e32 v[14:15], v[2:3], v[24:25]
	v_mul_f64_e32 v[16:17], v[0:1], v[24:25]
	s_wait_loadcnt 0x3
	scratch_store_b128 off, v[26:29], off offset:252 ; 16-byte Folded Spill
	s_wait_loadcnt 0x1
	scratch_store_b128 off, v[18:21], off offset:172 ; 16-byte Folded Spill
	v_fma_f64 v[68:69], v[0:1], v[22:23], v[14:15]
	v_fma_f64 v[70:71], v[2:3], v[22:23], -v[16:17]
	v_mul_f64_e32 v[0:1], v[6:7], v[28:29]
	v_mul_f64_e32 v[2:3], v[4:5], v[28:29]
	s_delay_alu instid0(VALU_DEP_2) | instskip(NEXT) | instid1(VALU_DEP_2)
	v_fma_f64 v[72:73], v[4:5], v[26:27], v[0:1]
	v_fma_f64 v[74:75], v[6:7], v[26:27], -v[2:3]
	s_wait_loadcnt 0x0
	v_mul_f64_e32 v[0:1], v[10:11], v[20:21]
	v_mul_f64_e32 v[2:3], v[8:9], v[20:21]
	v_add_co_u32 v4, vcc_lo, v12, s2
	s_wait_alu 0xfffd
	v_add_co_ci_u32_e32 v5, vcc_lo, s3, v13, vcc_lo
	s_delay_alu instid0(VALU_DEP_4) | instskip(NEXT) | instid1(VALU_DEP_4)
	v_fma_f64 v[76:77], v[8:9], v[18:19], v[0:1]
	v_fma_f64 v[78:79], v[10:11], v[18:19], -v[2:3]
	global_load_b128 v[10:13], v62, s[8:9] offset:4080
	global_load_b128 v[0:3], v[4:5], off
	v_add_co_u32 v4, vcc_lo, v4, s2
	s_wait_alu 0xfffd
	v_add_co_ci_u32_e32 v5, vcc_lo, s3, v5, vcc_lo
	s_wait_loadcnt 0x1
	scratch_store_b128 off, v[10:13], off offset:220 ; 16-byte Folded Spill
	s_wait_loadcnt 0x0
	v_mul_f64_e32 v[6:7], v[2:3], v[12:13]
	v_mul_f64_e32 v[8:9], v[0:1], v[12:13]
	s_delay_alu instid0(VALU_DEP_2) | instskip(NEXT) | instid1(VALU_DEP_2)
	v_fma_f64 v[80:81], v[0:1], v[10:11], v[6:7]
	v_fma_f64 v[82:83], v[2:3], v[10:11], -v[8:9]
	global_load_b128 v[10:13], v62, s[8:9] offset:5440
	global_load_b128 v[0:3], v[4:5], off
	v_add_co_u32 v4, vcc_lo, v4, s2
	s_wait_alu 0xfffd
	v_add_co_ci_u32_e32 v5, vcc_lo, s3, v5, vcc_lo
	s_wait_loadcnt 0x1
	scratch_store_b128 off, v[10:13], off offset:204 ; 16-byte Folded Spill
	s_wait_loadcnt 0x0
	v_mul_f64_e32 v[6:7], v[2:3], v[12:13]
	v_mul_f64_e32 v[8:9], v[0:1], v[12:13]
	s_delay_alu instid0(VALU_DEP_2) | instskip(NEXT) | instid1(VALU_DEP_2)
	;; [unrolled: 13-line block ×3, first 2 shown]
	v_fma_f64 v[88:89], v[0:1], v[10:11], v[6:7]
	v_fma_f64 v[90:91], v[2:3], v[10:11], -v[8:9]
	global_load_b128 v[10:13], v62, s[8:9] offset:8160
	global_load_b128 v[0:3], v[4:5], off
	s_wait_loadcnt 0x1
	scratch_store_b128 off, v[10:13], off offset:48 ; 16-byte Folded Spill
	s_wait_loadcnt 0x0
	v_mul_f64_e32 v[8:9], v[0:1], v[12:13]
	v_mul_f64_e32 v[6:7], v[2:3], v[12:13]
	s_delay_alu instid0(VALU_DEP_2) | instskip(SKIP_3) | instid1(VALU_DEP_4)
	v_fma_f64 v[2:3], v[2:3], v[10:11], -v[8:9]
	v_add_co_u32 v8, vcc_lo, v4, s2
	s_wait_alu 0xfffd
	v_add_co_ci_u32_e32 v9, vcc_lo, s3, v5, vcc_lo
	v_fma_f64 v[0:1], v[0:1], v[10:11], v[6:7]
	global_load_b128 v[14:17], v62, s[8:9] offset:9520
	global_load_b128 v[4:7], v[8:9], off
	s_wait_loadcnt 0x1
	scratch_store_b128 off, v[14:17], off offset:64 ; 16-byte Folded Spill
	s_wait_loadcnt 0x0
	v_mul_f64_e32 v[12:13], v[4:5], v[16:17]
	v_mul_f64_e32 v[10:11], v[6:7], v[16:17]
	s_delay_alu instid0(VALU_DEP_2) | instskip(SKIP_3) | instid1(VALU_DEP_4)
	v_fma_f64 v[6:7], v[6:7], v[14:15], -v[12:13]
	v_add_co_u32 v12, vcc_lo, v8, s2
	s_wait_alu 0xfffd
	v_add_co_ci_u32_e32 v13, vcc_lo, s3, v9, vcc_lo
	v_fma_f64 v[4:5], v[4:5], v[14:15], v[10:11]
	;; [unrolled: 13-line block ×9, first 2 shown]
	global_load_b128 v[47:50], v62, s[8:9] offset:20400
	global_load_b128 v[36:39], v[41:42], off
	v_add_co_u32 v41, vcc_lo, v41, s2
	s_wait_alu 0xfffd
	v_add_co_ci_u32_e32 v42, vcc_lo, s3, v42, vcc_lo
	s_mov_b32 s2, 0x370991
	s_mov_b32 s3, 0x3fedd6d0
	v_cmp_gt_u16_e32 vcc_lo, 34, v40
	s_wait_loadcnt 0x1
	scratch_store_b128 off, v[47:50], off offset:300 ; 16-byte Folded Spill
	s_wait_loadcnt 0x0
	v_mul_f64_e32 v[43:44], v[38:39], v[49:50]
	v_mul_f64_e32 v[45:46], v[36:37], v[49:50]
	s_delay_alu instid0(VALU_DEP_2)
	v_fma_f64 v[36:37], v[36:37], v[47:48], v[43:44]
	global_load_b128 v[41:44], v[41:42], off
	global_load_b128 v[49:52], v62, s[8:9] offset:21760
	v_fma_f64 v[38:39], v[38:39], v[47:48], -v[45:46]
	s_wait_loadcnt 0x0
	v_mul_f64_e32 v[45:46], v[43:44], v[51:52]
	v_mul_f64_e32 v[47:48], v[41:42], v[51:52]
	scratch_store_b128 off, v[49:52], off offset:316 ; 16-byte Folded Spill
	v_fma_f64 v[41:42], v[41:42], v[49:50], v[45:46]
	v_fma_f64 v[43:44], v[43:44], v[49:50], -v[47:48]
	ds_store_b128 v62, v[68:71]
	ds_store_b128 v62, v[72:75] offset:1360
	ds_store_b128 v62, v[76:79] offset:2720
	;; [unrolled: 1-line block ×16, first 2 shown]
	s_load_b128 s[4:7], s[6:7], 0x0
	global_wb scope:SCOPE_SE
	s_wait_storecnt_dscnt 0x0
	s_wait_kmcnt 0x0
	s_barrier_signal -1
	s_barrier_wait -1
	global_inv scope:SCOPE_SE
	ds_load_b128 v[68:71], v62
	ds_load_b128 v[72:75], v62 offset:1360
	ds_load_b128 v[76:79], v62 offset:2720
	ds_load_b128 v[80:83], v62 offset:4080
	ds_load_b128 v[84:87], v62 offset:5440
	ds_load_b128 v[88:91], v62 offset:6800
	ds_load_b128 v[92:95], v62 offset:8160
	ds_load_b128 v[96:99], v62 offset:9520
	ds_load_b128 v[100:103], v62 offset:10880
	ds_load_b128 v[104:107], v62 offset:12240
	ds_load_b128 v[8:11], v62 offset:13600
	s_wait_dscnt 0x9
	v_add_f64_e32 v[0:1], v[68:69], v[72:73]
	v_add_f64_e32 v[2:3], v[70:71], v[74:75]
	s_wait_dscnt 0x1
	v_add_f64_e64 v[28:29], v[100:101], -v[104:105]
	s_wait_dscnt 0x0
	v_add_f64_e64 v[112:113], v[96:97], -v[8:9]
	v_add_f64_e64 v[32:33], v[98:99], -v[10:11]
	;; [unrolled: 1-line block ×3, first 2 shown]
	v_add_f64_e32 v[0:1], v[0:1], v[76:77]
	v_add_f64_e32 v[2:3], v[2:3], v[78:79]
	v_mul_f64_e32 v[182:183], s[46:47], v[28:29]
	v_mul_f64_e32 v[178:179], s[30:31], v[112:113]
	;; [unrolled: 1-line block ×7, first 2 shown]
	v_add_f64_e32 v[0:1], v[0:1], v[80:81]
	v_add_f64_e32 v[2:3], v[2:3], v[82:83]
	s_delay_alu instid0(VALU_DEP_2) | instskip(NEXT) | instid1(VALU_DEP_2)
	v_add_f64_e32 v[0:1], v[0:1], v[84:85]
	v_add_f64_e32 v[2:3], v[2:3], v[86:87]
	s_delay_alu instid0(VALU_DEP_2) | instskip(NEXT) | instid1(VALU_DEP_2)
	;; [unrolled: 3-line block ×5, first 2 shown]
	v_add_f64_e32 v[4:5], v[0:1], v[100:101]
	v_add_f64_e32 v[6:7], v[2:3], v[102:103]
	;; [unrolled: 1-line block ×4, first 2 shown]
	s_delay_alu instid0(VALU_DEP_4) | instskip(NEXT) | instid1(VALU_DEP_4)
	v_add_f64_e32 v[12:13], v[4:5], v[104:105]
	v_add_f64_e32 v[14:15], v[6:7], v[106:107]
	;; [unrolled: 1-line block ×4, first 2 shown]
	s_delay_alu instid0(VALU_DEP_4) | instskip(NEXT) | instid1(VALU_DEP_4)
	v_add_f64_e32 v[16:17], v[12:13], v[8:9]
	v_add_f64_e32 v[18:19], v[14:15], v[10:11]
	ds_load_b128 v[12:15], v62 offset:14960
	s_wait_dscnt 0x0
	v_add_f64_e32 v[8:9], v[92:93], v[12:13]
	v_add_f64_e32 v[10:11], v[94:95], v[14:15]
	v_add_f64_e64 v[34:35], v[92:93], -v[12:13]
	v_add_f64_e64 v[114:115], v[94:95], -v[14:15]
	v_add_f64_e32 v[20:21], v[16:17], v[12:13]
	v_add_f64_e32 v[22:23], v[18:19], v[14:15]
	ds_load_b128 v[16:19], v62 offset:16320
	s_wait_dscnt 0x0
	v_add_f64_e32 v[12:13], v[88:89], v[16:17]
	v_add_f64_e32 v[14:15], v[90:91], v[18:19]
	v_add_f64_e64 v[116:117], v[88:89], -v[16:17]
	v_add_f64_e64 v[118:119], v[90:91], -v[18:19]
	v_mul_f64_e32 v[172:173], s[28:29], v[114:115]
	v_mul_f64_e32 v[174:175], s[28:29], v[34:35]
	v_add_f64_e32 v[24:25], v[20:21], v[16:17]
	v_add_f64_e32 v[26:27], v[22:23], v[18:19]
	ds_load_b128 v[20:23], v62 offset:17680
	s_wait_dscnt 0x0
	v_add_f64_e32 v[16:17], v[84:85], v[20:21]
	v_add_f64_e32 v[18:19], v[86:87], v[22:23]
	v_add_f64_e64 v[120:121], v[84:85], -v[20:21]
	v_add_f64_e64 v[122:123], v[86:87], -v[22:23]
	v_mul_f64_e32 v[168:169], s[26:27], v[118:119]
	v_mul_f64_e32 v[170:171], s[26:27], v[116:117]
	;; [unrolled: 10-line block ×3, first 2 shown]
	v_add_f64_e32 v[41:42], v[36:37], v[24:25]
	v_add_f64_e32 v[43:44], v[38:39], v[26:27]
	ds_load_b128 v[36:39], v62 offset:20400
	s_wait_dscnt 0x0
	v_add_f64_e32 v[24:25], v[76:77], v[36:37]
	v_add_f64_e32 v[26:27], v[78:79], v[38:39]
	v_add_f64_e64 v[128:129], v[76:77], -v[36:37]
	v_add_f64_e64 v[130:131], v[78:79], -v[38:39]
	v_mul_f64_e32 v[162:163], s[42:43], v[124:125]
	v_add_f64_e32 v[41:42], v[41:42], v[36:37]
	v_add_f64_e32 v[43:44], v[43:44], v[38:39]
	ds_load_b128 v[36:39], v62 offset:21760
	global_wb scope:SCOPE_SE
	s_wait_dscnt 0x0
	s_barrier_signal -1
	s_barrier_wait -1
	global_inv scope:SCOPE_SE
	v_add_f64_e64 v[45:46], v[74:75], -v[38:39]
	v_add_f64_e64 v[51:52], v[72:73], -v[36:37]
	v_add_f64_e32 v[47:48], v[72:73], v[36:37]
	v_add_f64_e32 v[49:50], v[74:75], v[38:39]
	;; [unrolled: 1-line block ×4, first 2 shown]
	v_mul_f64_e32 v[36:37], s[34:35], v[45:46]
	v_mul_f64_e32 v[38:39], s[40:41], v[45:46]
	v_mul_f64_e32 v[41:42], s[42:43], v[45:46]
	v_mul_f64_e32 v[43:44], s[38:39], v[45:46]
	v_mul_f64_e32 v[53:54], s[26:27], v[45:46]
	v_mul_f64_e32 v[55:56], s[28:29], v[45:46]
	v_mul_f64_e32 v[57:58], s[30:31], v[45:46]
	v_mul_f64_e32 v[45:46], s[36:37], v[45:46]
	v_mul_f64_e32 v[86:87], s[28:29], v[51:52]
	v_mul_f64_e32 v[90:91], s[30:31], v[51:52]
	v_mul_f64_e32 v[72:73], s[40:41], v[51:52]
	v_mul_f64_e32 v[74:75], s[42:43], v[51:52]
	v_mul_f64_e32 v[82:83], s[38:39], v[51:52]
	v_mul_f64_e32 v[84:85], s[26:27], v[51:52]
	v_fma_f64 v[59:60], v[47:48], s[2:3], -v[36:37]
	v_fma_f64 v[36:37], v[47:48], s[2:3], v[36:37]
	v_fma_f64 v[80:81], v[47:48], s[24:25], -v[38:39]
	v_fma_f64 v[38:39], v[47:48], s[24:25], v[38:39]
	;; [unrolled: 2-line block ×8, first 2 shown]
	v_mul_f64_e32 v[47:48], s[34:35], v[51:52]
	v_mul_f64_e32 v[51:52], s[36:37], v[51:52]
	v_fma_f64 v[144:145], v[49:50], s[22:23], -v[86:87]
	v_fma_f64 v[156:157], v[49:50], s[16:17], v[90:91]
	v_fma_f64 v[94:95], v[49:50], s[24:25], v[72:73]
	v_fma_f64 v[102:103], v[49:50], s[12:13], -v[74:75]
	v_fma_f64 v[108:109], v[49:50], s[20:21], -v[82:83]
	v_fma_f64 v[138:139], v[49:50], s[14:15], v[84:85]
	v_fma_f64 v[140:141], v[49:50], s[14:15], -v[84:85]
	v_fma_f64 v[158:159], v[49:50], s[16:17], -v[90:91]
	;; [unrolled: 1-line block ×3, first 2 shown]
	v_fma_f64 v[100:101], v[49:50], s[12:13], v[74:75]
	v_fma_f64 v[106:107], v[49:50], s[20:21], v[82:83]
	;; [unrolled: 1-line block ×3, first 2 shown]
	v_add_f64_e32 v[74:75], v[68:69], v[36:37]
	v_add_f64_e32 v[82:83], v[68:69], v[80:81]
	;; [unrolled: 1-line block ×9, first 2 shown]
	v_fma_f64 v[92:93], v[49:50], s[2:3], v[47:48]
	v_fma_f64 v[160:161], v[49:50], s[18:19], v[51:52]
	v_add_f64_e32 v[148:149], v[70:71], v[144:145]
	v_add_f64_e32 v[144:145], v[70:71], v[156:157]
	v_mul_f64_e32 v[156:157], s[40:41], v[130:131]
	v_fma_f64 v[47:48], v[49:50], s[2:3], -v[47:48]
	v_fma_f64 v[49:50], v[49:50], s[18:19], -v[51:52]
	v_add_f64_e32 v[51:52], v[68:69], v[59:60]
	v_add_f64_e32 v[80:81], v[70:71], v[94:95]
	;; [unrolled: 1-line block ×10, first 2 shown]
	v_mul_f64_e32 v[158:159], s[40:41], v[128:129]
	v_add_f64_e32 v[86:87], v[70:71], v[98:99]
	v_add_f64_e32 v[98:99], v[68:69], v[43:44]
	;; [unrolled: 1-line block ×6, first 2 shown]
	v_mul_f64_e32 v[160:161], s[42:43], v[126:127]
	v_add_f64_e32 v[92:93], v[70:71], v[100:101]
	v_fma_f64 v[36:37], v[24:25], s[24:25], -v[156:157]
	v_add_f64_e32 v[100:101], v[70:71], v[106:107]
	v_add_f64_e32 v[106:107], v[68:69], v[53:54]
	;; [unrolled: 1-line block ×4, first 2 shown]
	v_fma_f64 v[38:39], v[26:27], s[24:25], v[158:159]
	v_fma_f64 v[41:42], v[20:21], s[12:13], -v[160:161]
	v_fma_f64 v[45:46], v[20:21], s[12:13], v[160:161]
	v_add_f64_e32 v[36:37], v[36:37], v[51:52]
	v_mul_f64_e32 v[160:161], s[28:29], v[126:127]
	v_add_f64_e32 v[38:39], v[38:39], v[59:60]
	s_delay_alu instid0(VALU_DEP_3) | instskip(SKIP_1) | instid1(VALU_DEP_1)
	v_add_f64_e32 v[36:37], v[41:42], v[36:37]
	v_fma_f64 v[41:42], v[22:23], s[12:13], v[162:163]
	v_add_f64_e32 v[38:39], v[41:42], v[38:39]
	v_fma_f64 v[41:42], v[16:17], s[20:21], -v[164:165]
	s_delay_alu instid0(VALU_DEP_1) | instskip(SKIP_1) | instid1(VALU_DEP_1)
	v_add_f64_e32 v[36:37], v[41:42], v[36:37]
	v_fma_f64 v[41:42], v[18:19], s[20:21], v[166:167]
	v_add_f64_e32 v[38:39], v[41:42], v[38:39]
	v_fma_f64 v[41:42], v[12:13], s[14:15], -v[168:169]
	s_delay_alu instid0(VALU_DEP_1) | instskip(SKIP_1) | instid1(VALU_DEP_1)
	;; [unrolled: 5-line block ×4, first 2 shown]
	v_add_f64_e32 v[36:37], v[41:42], v[36:37]
	v_fma_f64 v[41:42], v[6:7], s[16:17], v[178:179]
	v_add_f64_e32 v[38:39], v[41:42], v[38:39]
	v_mul_f64_e32 v[41:42], s[36:37], v[30:31]
	s_delay_alu instid0(VALU_DEP_1) | instskip(SKIP_1) | instid1(VALU_DEP_2)
	v_fma_f64 v[43:44], v[0:1], s[18:19], -v[41:42]
	v_fma_f64 v[41:42], v[0:1], s[18:19], v[41:42]
	v_add_f64_e32 v[68:69], v[43:44], v[36:37]
	v_mul_f64_e32 v[36:37], s[36:37], v[28:29]
	s_delay_alu instid0(VALU_DEP_1) | instskip(SKIP_1) | instid1(VALU_DEP_2)
	v_fma_f64 v[43:44], v[2:3], s[18:19], v[36:37]
	v_fma_f64 v[36:37], v[2:3], s[18:19], -v[36:37]
	v_add_f64_e32 v[70:71], v[43:44], v[38:39]
	v_fma_f64 v[38:39], v[24:25], s[24:25], v[156:157]
	v_fma_f64 v[43:44], v[26:27], s[24:25], -v[158:159]
	v_mul_f64_e32 v[156:157], s[38:39], v[130:131]
	v_mul_f64_e32 v[158:159], s[38:39], v[128:129]
	s_delay_alu instid0(VALU_DEP_4) | instskip(NEXT) | instid1(VALU_DEP_4)
	v_add_f64_e32 v[38:39], v[38:39], v[74:75]
	v_add_f64_e32 v[43:44], v[43:44], v[72:73]
	s_delay_alu instid0(VALU_DEP_2) | instskip(SKIP_2) | instid1(VALU_DEP_2)
	v_add_f64_e32 v[38:39], v[45:46], v[38:39]
	v_fma_f64 v[45:46], v[22:23], s[12:13], -v[162:163]
	v_mul_f64_e32 v[162:163], s[28:29], v[124:125]
	v_add_f64_e32 v[43:44], v[45:46], v[43:44]
	v_fma_f64 v[45:46], v[16:17], s[20:21], v[164:165]
	v_mul_f64_e32 v[164:165], s[36:37], v[122:123]
	s_delay_alu instid0(VALU_DEP_2) | instskip(SKIP_2) | instid1(VALU_DEP_2)
	v_add_f64_e32 v[38:39], v[45:46], v[38:39]
	v_fma_f64 v[45:46], v[18:19], s[20:21], -v[166:167]
	v_mul_f64_e32 v[166:167], s[36:37], v[120:121]
	v_add_f64_e32 v[43:44], v[45:46], v[43:44]
	v_fma_f64 v[45:46], v[12:13], s[14:15], v[168:169]
	v_mul_f64_e32 v[168:169], s[54:55], v[118:119]
	;; [unrolled: 7-line block ×4, first 2 shown]
	s_delay_alu instid0(VALU_DEP_2) | instskip(SKIP_2) | instid1(VALU_DEP_3)
	v_add_f64_e32 v[38:39], v[45:46], v[38:39]
	v_fma_f64 v[45:46], v[6:7], s[16:17], -v[178:179]
	v_mul_f64_e32 v[178:179], s[44:45], v[112:113]
	v_add_f64_e32 v[72:73], v[41:42], v[38:39]
	s_delay_alu instid0(VALU_DEP_3) | instskip(SKIP_3) | instid1(VALU_DEP_4)
	v_add_f64_e32 v[43:44], v[45:46], v[43:44]
	v_fma_f64 v[38:39], v[26:27], s[20:21], v[158:159]
	v_fma_f64 v[41:42], v[20:21], s[22:23], -v[160:161]
	v_mul_f64_e32 v[45:46], s[48:49], v[126:127]
	v_add_f64_e32 v[74:75], v[36:37], v[43:44]
	v_fma_f64 v[36:37], v[24:25], s[20:21], -v[156:157]
	v_add_f64_e32 v[38:39], v[38:39], v[80:81]
	s_delay_alu instid0(VALU_DEP_4) | instskip(NEXT) | instid1(VALU_DEP_3)
	v_fma_f64 v[47:48], v[20:21], s[18:19], -v[45:46]
	v_add_f64_e32 v[36:37], v[36:37], v[82:83]
	s_delay_alu instid0(VALU_DEP_1) | instskip(SKIP_1) | instid1(VALU_DEP_1)
	v_add_f64_e32 v[36:37], v[41:42], v[36:37]
	v_fma_f64 v[41:42], v[22:23], s[22:23], v[162:163]
	v_add_f64_e32 v[38:39], v[41:42], v[38:39]
	v_fma_f64 v[41:42], v[16:17], s[18:19], -v[164:165]
	s_delay_alu instid0(VALU_DEP_1) | instskip(SKIP_1) | instid1(VALU_DEP_1)
	v_add_f64_e32 v[36:37], v[41:42], v[36:37]
	v_fma_f64 v[41:42], v[18:19], s[18:19], v[166:167]
	v_add_f64_e32 v[38:39], v[41:42], v[38:39]
	v_fma_f64 v[41:42], v[12:13], s[16:17], -v[168:169]
	s_delay_alu instid0(VALU_DEP_1) | instskip(SKIP_1) | instid1(VALU_DEP_1)
	v_add_f64_e32 v[36:37], v[41:42], v[36:37]
	v_fma_f64 v[41:42], v[14:15], s[16:17], v[170:171]
	v_add_f64_e32 v[38:39], v[41:42], v[38:39]
	v_fma_f64 v[41:42], v[8:9], s[14:15], -v[172:173]
	s_delay_alu instid0(VALU_DEP_1) | instskip(SKIP_1) | instid1(VALU_DEP_1)
	v_add_f64_e32 v[36:37], v[41:42], v[36:37]
	v_fma_f64 v[41:42], v[10:11], s[14:15], v[174:175]
	v_add_f64_e32 v[38:39], v[41:42], v[38:39]
	v_fma_f64 v[41:42], v[4:5], s[12:13], -v[176:177]
	s_delay_alu instid0(VALU_DEP_1) | instskip(SKIP_1) | instid1(VALU_DEP_1)
	v_add_f64_e32 v[36:37], v[41:42], v[36:37]
	v_fma_f64 v[41:42], v[6:7], s[12:13], v[178:179]
	v_add_f64_e32 v[38:39], v[41:42], v[38:39]
	v_fma_f64 v[41:42], v[0:1], s[2:3], -v[180:181]
	s_delay_alu instid0(VALU_DEP_1) | instskip(SKIP_2) | instid1(VALU_DEP_2)
	v_add_f64_e32 v[80:81], v[41:42], v[36:37]
	v_fma_f64 v[36:37], v[2:3], s[2:3], v[182:183]
	v_mul_f64_e32 v[41:42], s[28:29], v[128:129]
	v_add_f64_e32 v[82:83], v[36:37], v[38:39]
	v_mul_f64_e32 v[36:37], s[28:29], v[130:131]
	s_delay_alu instid0(VALU_DEP_3) | instskip(SKIP_1) | instid1(VALU_DEP_3)
	v_fma_f64 v[43:44], v[26:27], s[22:23], v[41:42]
	v_fma_f64 v[41:42], v[26:27], s[22:23], -v[41:42]
	v_fma_f64 v[38:39], v[24:25], s[22:23], -v[36:37]
	s_delay_alu instid0(VALU_DEP_3) | instskip(SKIP_1) | instid1(VALU_DEP_4)
	v_add_f64_e32 v[43:44], v[43:44], v[92:93]
	v_fma_f64 v[36:37], v[24:25], s[22:23], v[36:37]
	v_add_f64_e32 v[41:42], v[41:42], v[88:89]
	s_delay_alu instid0(VALU_DEP_4) | instskip(NEXT) | instid1(VALU_DEP_3)
	v_add_f64_e32 v[38:39], v[38:39], v[94:95]
	v_add_f64_e32 v[36:37], v[36:37], v[90:91]
	s_delay_alu instid0(VALU_DEP_2) | instskip(SKIP_3) | instid1(VALU_DEP_1)
	v_add_f64_e32 v[38:39], v[47:48], v[38:39]
	v_mul_f64_e32 v[47:48], s[48:49], v[124:125]
	s_mov_b32 s49, 0x3fe58eea
	s_mov_b32 s48, s40
	v_fma_f64 v[49:50], v[22:23], s[18:19], v[47:48]
	s_delay_alu instid0(VALU_DEP_1) | instskip(SKIP_1) | instid1(VALU_DEP_1)
	v_add_f64_e32 v[43:44], v[49:50], v[43:44]
	v_mul_f64_e32 v[49:50], s[50:51], v[122:123]
	v_fma_f64 v[51:52], v[16:17], s[14:15], -v[49:50]
	s_delay_alu instid0(VALU_DEP_1) | instskip(SKIP_1) | instid1(VALU_DEP_1)
	v_add_f64_e32 v[38:39], v[51:52], v[38:39]
	v_mul_f64_e32 v[51:52], s[50:51], v[120:121]
	v_fma_f64 v[53:54], v[18:19], s[14:15], v[51:52]
	s_delay_alu instid0(VALU_DEP_1) | instskip(SKIP_2) | instid1(VALU_DEP_1)
	v_add_f64_e32 v[43:44], v[53:54], v[43:44]
	s_wait_alu 0xfffe
	v_mul_f64_e32 v[53:54], s[48:49], v[118:119]
	v_fma_f64 v[55:56], v[12:13], s[24:25], -v[53:54]
	s_delay_alu instid0(VALU_DEP_1) | instskip(SKIP_1) | instid1(VALU_DEP_1)
	v_add_f64_e32 v[38:39], v[55:56], v[38:39]
	v_mul_f64_e32 v[55:56], s[48:49], v[116:117]
	v_fma_f64 v[57:58], v[14:15], s[24:25], v[55:56]
	s_delay_alu instid0(VALU_DEP_1) | instskip(SKIP_1) | instid1(VALU_DEP_1)
	v_add_f64_e32 v[43:44], v[57:58], v[43:44]
	v_mul_f64_e32 v[57:58], s[34:35], v[114:115]
	v_fma_f64 v[59:60], v[8:9], s[2:3], -v[57:58]
	s_delay_alu instid0(VALU_DEP_1) | instskip(SKIP_1) | instid1(VALU_DEP_1)
	v_add_f64_e32 v[38:39], v[59:60], v[38:39]
	v_mul_f64_e32 v[59:60], s[34:35], v[34:35]
	v_fma_f64 v[92:93], v[10:11], s[2:3], v[59:60]
	s_delay_alu instid0(VALU_DEP_1) | instskip(SKIP_1) | instid1(VALU_DEP_1)
	v_add_f64_e32 v[43:44], v[92:93], v[43:44]
	v_fma_f64 v[92:93], v[4:5], s[20:21], -v[184:185]
	v_add_f64_e32 v[38:39], v[92:93], v[38:39]
	v_fma_f64 v[92:93], v[6:7], s[20:21], v[186:187]
	s_delay_alu instid0(VALU_DEP_1) | instskip(SKIP_1) | instid1(VALU_DEP_1)
	v_add_f64_e32 v[43:44], v[92:93], v[43:44]
	v_fma_f64 v[92:93], v[0:1], s[16:17], -v[188:189]
	v_add_f64_e32 v[92:93], v[92:93], v[38:39]
	v_mul_f64_e32 v[38:39], s[30:31], v[28:29]
	s_delay_alu instid0(VALU_DEP_1) | instskip(SKIP_1) | instid1(VALU_DEP_2)
	v_fma_f64 v[94:95], v[2:3], s[16:17], v[38:39]
	v_fma_f64 v[38:39], v[2:3], s[16:17], -v[38:39]
	v_add_f64_e32 v[94:95], v[94:95], v[43:44]
	v_fma_f64 v[43:44], v[20:21], s[18:19], v[45:46]
	v_mul_f64_e32 v[45:46], s[50:51], v[126:127]
	s_delay_alu instid0(VALU_DEP_2) | instskip(SKIP_1) | instid1(VALU_DEP_3)
	v_add_f64_e32 v[36:37], v[43:44], v[36:37]
	v_fma_f64 v[43:44], v[22:23], s[18:19], -v[47:48]
	v_fma_f64 v[47:48], v[20:21], s[14:15], -v[45:46]
	s_delay_alu instid0(VALU_DEP_2) | instskip(SKIP_1) | instid1(VALU_DEP_1)
	v_add_f64_e32 v[41:42], v[43:44], v[41:42]
	v_fma_f64 v[43:44], v[16:17], s[14:15], v[49:50]
	v_add_f64_e32 v[36:37], v[43:44], v[36:37]
	v_fma_f64 v[43:44], v[18:19], s[14:15], -v[51:52]
	s_delay_alu instid0(VALU_DEP_1) | instskip(SKIP_1) | instid1(VALU_DEP_1)
	v_add_f64_e32 v[41:42], v[43:44], v[41:42]
	v_fma_f64 v[43:44], v[12:13], s[24:25], v[53:54]
	v_add_f64_e32 v[36:37], v[43:44], v[36:37]
	v_fma_f64 v[43:44], v[14:15], s[24:25], -v[55:56]
	s_delay_alu instid0(VALU_DEP_1) | instskip(SKIP_1) | instid1(VALU_DEP_1)
	v_add_f64_e32 v[41:42], v[43:44], v[41:42]
	v_fma_f64 v[43:44], v[8:9], s[2:3], v[57:58]
	v_add_f64_e32 v[36:37], v[43:44], v[36:37]
	v_fma_f64 v[43:44], v[10:11], s[2:3], -v[59:60]
	s_delay_alu instid0(VALU_DEP_1) | instskip(SKIP_2) | instid1(VALU_DEP_2)
	v_add_f64_e32 v[41:42], v[43:44], v[41:42]
	v_fma_f64 v[43:44], v[4:5], s[20:21], v[184:185]
	v_mul_f64_e32 v[184:185], s[52:53], v[32:33]
	v_add_f64_e32 v[36:37], v[43:44], v[36:37]
	v_fma_f64 v[43:44], v[6:7], s[20:21], -v[186:187]
	v_mul_f64_e32 v[186:187], s[52:53], v[112:113]
	s_delay_alu instid0(VALU_DEP_2) | instskip(SKIP_2) | instid1(VALU_DEP_3)
	v_add_f64_e32 v[41:42], v[43:44], v[41:42]
	v_fma_f64 v[43:44], v[0:1], s[16:17], v[188:189]
	v_mul_f64_e32 v[188:189], s[48:49], v[30:31]
	v_add_f64_e32 v[90:91], v[38:39], v[41:42]
	s_delay_alu instid0(VALU_DEP_3) | instskip(SKIP_2) | instid1(VALU_DEP_2)
	v_add_f64_e32 v[88:89], v[43:44], v[36:37]
	v_mul_f64_e32 v[36:37], s[36:37], v[130:131]
	v_mul_f64_e32 v[41:42], s[36:37], v[128:129]
	v_fma_f64 v[38:39], v[24:25], s[18:19], -v[36:37]
	s_delay_alu instid0(VALU_DEP_2) | instskip(SKIP_2) | instid1(VALU_DEP_4)
	v_fma_f64 v[43:44], v[26:27], s[18:19], v[41:42]
	v_fma_f64 v[36:37], v[24:25], s[18:19], v[36:37]
	v_fma_f64 v[41:42], v[26:27], s[18:19], -v[41:42]
	v_add_f64_e32 v[38:39], v[38:39], v[102:103]
	s_delay_alu instid0(VALU_DEP_4) | instskip(NEXT) | instid1(VALU_DEP_4)
	v_add_f64_e32 v[43:44], v[43:44], v[100:101]
	v_add_f64_e32 v[36:37], v[36:37], v[98:99]
	s_delay_alu instid0(VALU_DEP_4) | instskip(NEXT) | instid1(VALU_DEP_4)
	v_add_f64_e32 v[41:42], v[41:42], v[96:97]
	v_add_f64_e32 v[38:39], v[47:48], v[38:39]
	v_mul_f64_e32 v[47:48], s[50:51], v[124:125]
	s_delay_alu instid0(VALU_DEP_1) | instskip(NEXT) | instid1(VALU_DEP_1)
	v_fma_f64 v[49:50], v[22:23], s[14:15], v[47:48]
	v_add_f64_e32 v[43:44], v[49:50], v[43:44]
	v_mul_f64_e32 v[49:50], s[46:47], v[122:123]
	s_delay_alu instid0(VALU_DEP_1) | instskip(NEXT) | instid1(VALU_DEP_1)
	v_fma_f64 v[51:52], v[16:17], s[2:3], -v[49:50]
	v_add_f64_e32 v[38:39], v[51:52], v[38:39]
	v_mul_f64_e32 v[51:52], s[46:47], v[120:121]
	s_delay_alu instid0(VALU_DEP_1) | instskip(NEXT) | instid1(VALU_DEP_1)
	v_fma_f64 v[53:54], v[18:19], s[2:3], v[51:52]
	v_add_f64_e32 v[43:44], v[53:54], v[43:44]
	v_mul_f64_e32 v[53:54], s[42:43], v[118:119]
	s_delay_alu instid0(VALU_DEP_1) | instskip(NEXT) | instid1(VALU_DEP_1)
	v_fma_f64 v[55:56], v[12:13], s[12:13], -v[53:54]
	;; [unrolled: 8-line block ×3, first 2 shown]
	v_add_f64_e32 v[38:39], v[59:60], v[38:39]
	v_mul_f64_e32 v[59:60], s[30:31], v[34:35]
	s_delay_alu instid0(VALU_DEP_1) | instskip(NEXT) | instid1(VALU_DEP_1)
	v_fma_f64 v[100:101], v[10:11], s[16:17], v[59:60]
	v_add_f64_e32 v[43:44], v[100:101], v[43:44]
	v_fma_f64 v[100:101], v[4:5], s[22:23], -v[184:185]
	s_delay_alu instid0(VALU_DEP_1) | instskip(SKIP_1) | instid1(VALU_DEP_1)
	v_add_f64_e32 v[38:39], v[100:101], v[38:39]
	v_fma_f64 v[100:101], v[6:7], s[22:23], v[186:187]
	v_add_f64_e32 v[43:44], v[100:101], v[43:44]
	v_fma_f64 v[100:101], v[0:1], s[24:25], -v[188:189]
	s_delay_alu instid0(VALU_DEP_1) | instskip(SKIP_1) | instid1(VALU_DEP_1)
	v_add_f64_e32 v[100:101], v[100:101], v[38:39]
	v_mul_f64_e32 v[38:39], s[48:49], v[28:29]
	v_fma_f64 v[102:103], v[2:3], s[24:25], v[38:39]
	v_fma_f64 v[38:39], v[2:3], s[24:25], -v[38:39]
	s_delay_alu instid0(VALU_DEP_2) | instskip(SKIP_2) | instid1(VALU_DEP_2)
	v_add_f64_e32 v[102:103], v[102:103], v[43:44]
	v_fma_f64 v[43:44], v[20:21], s[14:15], v[45:46]
	v_mul_f64_e32 v[45:46], s[48:49], v[126:127]
	v_add_f64_e32 v[36:37], v[43:44], v[36:37]
	v_fma_f64 v[43:44], v[22:23], s[14:15], -v[47:48]
	s_delay_alu instid0(VALU_DEP_3) | instskip(NEXT) | instid1(VALU_DEP_2)
	v_fma_f64 v[47:48], v[20:21], s[24:25], -v[45:46]
	v_add_f64_e32 v[41:42], v[43:44], v[41:42]
	v_fma_f64 v[43:44], v[16:17], s[2:3], v[49:50]
	s_delay_alu instid0(VALU_DEP_1) | instskip(SKIP_1) | instid1(VALU_DEP_1)
	v_add_f64_e32 v[36:37], v[43:44], v[36:37]
	v_fma_f64 v[43:44], v[18:19], s[2:3], -v[51:52]
	v_add_f64_e32 v[41:42], v[43:44], v[41:42]
	v_fma_f64 v[43:44], v[12:13], s[12:13], v[53:54]
	s_delay_alu instid0(VALU_DEP_1) | instskip(SKIP_1) | instid1(VALU_DEP_1)
	v_add_f64_e32 v[36:37], v[43:44], v[36:37]
	;; [unrolled: 5-line block ×3, first 2 shown]
	v_fma_f64 v[43:44], v[10:11], s[16:17], -v[59:60]
	v_add_f64_e32 v[41:42], v[43:44], v[41:42]
	v_fma_f64 v[43:44], v[4:5], s[22:23], v[184:185]
	v_mul_f64_e32 v[184:185], s[34:35], v[32:33]
	s_delay_alu instid0(VALU_DEP_2) | instskip(SKIP_2) | instid1(VALU_DEP_2)
	v_add_f64_e32 v[36:37], v[43:44], v[36:37]
	v_fma_f64 v[43:44], v[6:7], s[22:23], -v[186:187]
	v_mul_f64_e32 v[186:187], s[34:35], v[112:113]
	v_add_f64_e32 v[41:42], v[43:44], v[41:42]
	v_fma_f64 v[43:44], v[0:1], s[24:25], v[188:189]
	v_mul_f64_e32 v[188:189], s[28:29], v[30:31]
	s_delay_alu instid0(VALU_DEP_3) | instskip(NEXT) | instid1(VALU_DEP_3)
	v_add_f64_e32 v[98:99], v[38:39], v[41:42]
	v_add_f64_e32 v[96:97], v[43:44], v[36:37]
	v_mul_f64_e32 v[36:37], s[54:55], v[130:131]
	v_mul_f64_e32 v[41:42], s[54:55], v[128:129]
	s_delay_alu instid0(VALU_DEP_2) | instskip(NEXT) | instid1(VALU_DEP_2)
	v_fma_f64 v[38:39], v[24:25], s[16:17], -v[36:37]
	v_fma_f64 v[43:44], v[26:27], s[16:17], v[41:42]
	v_fma_f64 v[36:37], v[24:25], s[16:17], v[36:37]
	v_fma_f64 v[41:42], v[26:27], s[16:17], -v[41:42]
	s_delay_alu instid0(VALU_DEP_4) | instskip(NEXT) | instid1(VALU_DEP_4)
	v_add_f64_e32 v[38:39], v[38:39], v[110:111]
	v_add_f64_e32 v[43:44], v[43:44], v[108:109]
	s_delay_alu instid0(VALU_DEP_4) | instskip(NEXT) | instid1(VALU_DEP_4)
	v_add_f64_e32 v[36:37], v[36:37], v[106:107]
	v_add_f64_e32 v[41:42], v[41:42], v[104:105]
	s_delay_alu instid0(VALU_DEP_4) | instskip(SKIP_1) | instid1(VALU_DEP_1)
	v_add_f64_e32 v[38:39], v[47:48], v[38:39]
	v_mul_f64_e32 v[47:48], s[48:49], v[124:125]
	v_fma_f64 v[49:50], v[22:23], s[24:25], v[47:48]
	s_delay_alu instid0(VALU_DEP_1) | instskip(SKIP_1) | instid1(VALU_DEP_1)
	v_add_f64_e32 v[43:44], v[49:50], v[43:44]
	v_mul_f64_e32 v[49:50], s[42:43], v[122:123]
	v_fma_f64 v[51:52], v[16:17], s[12:13], -v[49:50]
	s_delay_alu instid0(VALU_DEP_1) | instskip(SKIP_3) | instid1(VALU_DEP_1)
	v_add_f64_e32 v[38:39], v[51:52], v[38:39]
	v_mul_f64_e32 v[51:52], s[42:43], v[120:121]
	s_mov_b32 s43, 0x3fefdd0d
	s_mov_b32 s42, s38
	v_fma_f64 v[53:54], v[18:19], s[12:13], v[51:52]
	s_delay_alu instid0(VALU_DEP_1) | instskip(SKIP_1) | instid1(VALU_DEP_1)
	v_add_f64_e32 v[43:44], v[53:54], v[43:44]
	v_mul_f64_e32 v[53:54], s[36:37], v[118:119]
	v_fma_f64 v[55:56], v[12:13], s[18:19], -v[53:54]
	s_delay_alu instid0(VALU_DEP_1) | instskip(SKIP_1) | instid1(VALU_DEP_1)
	v_add_f64_e32 v[38:39], v[55:56], v[38:39]
	v_mul_f64_e32 v[55:56], s[36:37], v[116:117]
	v_fma_f64 v[57:58], v[14:15], s[18:19], v[55:56]
	s_delay_alu instid0(VALU_DEP_1) | instskip(SKIP_2) | instid1(VALU_DEP_1)
	v_add_f64_e32 v[43:44], v[57:58], v[43:44]
	s_wait_alu 0xfffe
	v_mul_f64_e32 v[57:58], s[42:43], v[114:115]
	v_fma_f64 v[59:60], v[8:9], s[20:21], -v[57:58]
	s_delay_alu instid0(VALU_DEP_1) | instskip(SKIP_1) | instid1(VALU_DEP_1)
	v_add_f64_e32 v[38:39], v[59:60], v[38:39]
	v_mul_f64_e32 v[59:60], s[42:43], v[34:35]
	v_fma_f64 v[108:109], v[10:11], s[20:21], v[59:60]
	s_delay_alu instid0(VALU_DEP_1) | instskip(SKIP_1) | instid1(VALU_DEP_1)
	v_add_f64_e32 v[43:44], v[108:109], v[43:44]
	v_fma_f64 v[108:109], v[4:5], s[2:3], -v[184:185]
	v_add_f64_e32 v[38:39], v[108:109], v[38:39]
	v_fma_f64 v[108:109], v[6:7], s[2:3], v[186:187]
	s_delay_alu instid0(VALU_DEP_1) | instskip(SKIP_1) | instid1(VALU_DEP_1)
	v_add_f64_e32 v[43:44], v[108:109], v[43:44]
	v_fma_f64 v[108:109], v[0:1], s[22:23], -v[188:189]
	v_add_f64_e32 v[108:109], v[108:109], v[38:39]
	v_mul_f64_e32 v[38:39], s[28:29], v[28:29]
	s_delay_alu instid0(VALU_DEP_1) | instskip(SKIP_1) | instid1(VALU_DEP_2)
	v_fma_f64 v[110:111], v[2:3], s[22:23], v[38:39]
	v_fma_f64 v[38:39], v[2:3], s[22:23], -v[38:39]
	v_add_f64_e32 v[110:111], v[110:111], v[43:44]
	v_fma_f64 v[43:44], v[20:21], s[24:25], v[45:46]
	v_mul_f64_e32 v[45:46], s[50:51], v[128:129]
	s_delay_alu instid0(VALU_DEP_2) | instskip(SKIP_2) | instid1(VALU_DEP_2)
	v_add_f64_e32 v[36:37], v[43:44], v[36:37]
	v_fma_f64 v[43:44], v[22:23], s[24:25], -v[47:48]
	v_mul_f64_e32 v[47:48], s[34:35], v[126:127]
	v_add_f64_e32 v[41:42], v[43:44], v[41:42]
	v_fma_f64 v[43:44], v[16:17], s[12:13], v[49:50]
	v_mul_f64_e32 v[49:50], s[34:35], v[124:125]
	s_delay_alu instid0(VALU_DEP_2) | instskip(SKIP_2) | instid1(VALU_DEP_2)
	v_add_f64_e32 v[36:37], v[43:44], v[36:37]
	v_fma_f64 v[43:44], v[18:19], s[12:13], -v[51:52]
	v_mul_f64_e32 v[51:52], s[30:31], v[122:123]
	v_add_f64_e32 v[41:42], v[43:44], v[41:42]
	v_fma_f64 v[43:44], v[12:13], s[18:19], v[53:54]
	v_mul_f64_e32 v[53:54], s[30:31], v[120:121]
	s_delay_alu instid0(VALU_DEP_2) | instskip(SKIP_2) | instid1(VALU_DEP_2)
	v_add_f64_e32 v[36:37], v[43:44], v[36:37]
	v_fma_f64 v[43:44], v[14:15], s[18:19], -v[55:56]
	v_mul_f64_e32 v[55:56], s[42:43], v[118:119]
	v_add_f64_e32 v[41:42], v[43:44], v[41:42]
	v_fma_f64 v[43:44], v[8:9], s[20:21], v[57:58]
	v_mul_f64_e32 v[57:58], s[42:43], v[116:117]
	s_delay_alu instid0(VALU_DEP_2) | instskip(SKIP_2) | instid1(VALU_DEP_2)
	v_add_f64_e32 v[36:37], v[43:44], v[36:37]
	v_fma_f64 v[43:44], v[10:11], s[20:21], -v[59:60]
	v_mul_f64_e32 v[59:60], s[40:41], v[114:115]
	v_add_f64_e32 v[41:42], v[43:44], v[41:42]
	v_fma_f64 v[43:44], v[4:5], s[2:3], v[184:185]
	v_mul_f64_e32 v[184:185], s[36:37], v[112:113]
	s_delay_alu instid0(VALU_DEP_2) | instskip(SKIP_2) | instid1(VALU_DEP_2)
	v_add_f64_e32 v[36:37], v[43:44], v[36:37]
	v_fma_f64 v[43:44], v[6:7], s[2:3], -v[186:187]
	v_mul_f64_e32 v[186:187], s[44:45], v[30:31]
	v_add_f64_e32 v[41:42], v[43:44], v[41:42]
	v_fma_f64 v[43:44], v[0:1], s[22:23], v[188:189]
	s_delay_alu instid0(VALU_DEP_2) | instskip(NEXT) | instid1(VALU_DEP_2)
	v_add_f64_e32 v[106:107], v[38:39], v[41:42]
	v_add_f64_e32 v[104:105], v[43:44], v[36:37]
	v_mul_f64_e32 v[36:37], s[50:51], v[130:131]
	v_fma_f64 v[41:42], v[26:27], s[14:15], v[45:46]
	v_fma_f64 v[43:44], v[20:21], s[2:3], -v[47:48]
	v_fma_f64 v[45:46], v[26:27], s[14:15], -v[45:46]
	v_fma_f64 v[47:48], v[20:21], s[2:3], v[47:48]
	v_fma_f64 v[38:39], v[24:25], s[14:15], -v[36:37]
	v_fma_f64 v[36:37], v[24:25], s[14:15], v[36:37]
	v_add_f64_e32 v[41:42], v[41:42], v[152:153]
	v_add_f64_e32 v[45:46], v[45:46], v[148:149]
	v_mul_f64_e32 v[152:153], s[40:41], v[34:35]
	v_mul_f64_e32 v[148:149], s[34:35], v[116:117]
	;; [unrolled: 1-line block ×3, first 2 shown]
	v_add_f64_e32 v[38:39], v[38:39], v[154:155]
	v_add_f64_e32 v[36:37], v[36:37], v[150:151]
	v_mul_f64_e32 v[154:155], s[36:37], v[32:33]
	v_mul_f64_e32 v[150:151], s[36:37], v[114:115]
	;; [unrolled: 1-line block ×3, first 2 shown]
	v_add_f64_e32 v[38:39], v[43:44], v[38:39]
	v_fma_f64 v[43:44], v[22:23], s[2:3], v[49:50]
	v_add_f64_e32 v[36:37], v[47:48], v[36:37]
	v_fma_f64 v[47:48], v[22:23], s[2:3], -v[49:50]
	s_delay_alu instid0(VALU_DEP_3) | instskip(SKIP_1) | instid1(VALU_DEP_3)
	v_add_f64_e32 v[41:42], v[43:44], v[41:42]
	v_fma_f64 v[43:44], v[16:17], s[16:17], -v[51:52]
	v_add_f64_e32 v[45:46], v[47:48], v[45:46]
	v_fma_f64 v[47:48], v[16:17], s[16:17], v[51:52]
	s_delay_alu instid0(VALU_DEP_3) | instskip(SKIP_1) | instid1(VALU_DEP_3)
	v_add_f64_e32 v[38:39], v[43:44], v[38:39]
	v_fma_f64 v[43:44], v[18:19], s[16:17], v[53:54]
	v_add_f64_e32 v[36:37], v[47:48], v[36:37]
	v_fma_f64 v[47:48], v[18:19], s[16:17], -v[53:54]
	v_mul_f64_e32 v[53:54], s[44:45], v[128:129]
	s_delay_alu instid0(VALU_DEP_4) | instskip(SKIP_1) | instid1(VALU_DEP_4)
	v_add_f64_e32 v[41:42], v[43:44], v[41:42]
	v_fma_f64 v[43:44], v[12:13], s[20:21], -v[55:56]
	v_add_f64_e32 v[45:46], v[47:48], v[45:46]
	v_fma_f64 v[47:48], v[12:13], s[20:21], v[55:56]
	v_mul_f64_e32 v[55:56], s[38:39], v[126:127]
	v_fma_f64 v[49:50], v[26:27], s[12:13], v[53:54]
	v_fma_f64 v[53:54], v[26:27], s[12:13], -v[53:54]
	v_mul_f64_e32 v[126:127], s[30:31], v[126:127]
	v_add_f64_e32 v[38:39], v[43:44], v[38:39]
	v_fma_f64 v[43:44], v[14:15], s[20:21], v[57:58]
	v_add_f64_e32 v[36:37], v[47:48], v[36:37]
	v_fma_f64 v[47:48], v[14:15], s[20:21], -v[57:58]
	v_fma_f64 v[51:52], v[20:21], s[20:21], -v[55:56]
	v_mul_f64_e32 v[57:58], s[38:39], v[124:125]
	v_add_f64_e32 v[49:50], v[49:50], v[144:145]
	v_fma_f64 v[55:56], v[20:21], s[20:21], v[55:56]
	v_mul_f64_e32 v[144:145], s[52:53], v[120:121]
	v_add_f64_e32 v[53:54], v[53:54], v[140:141]
	v_mul_f64_e32 v[124:125], s[30:31], v[124:125]
	v_mul_f64_e32 v[120:121], s[48:49], v[120:121]
	v_add_f64_e32 v[41:42], v[43:44], v[41:42]
	v_fma_f64 v[43:44], v[8:9], s[24:25], -v[59:60]
	v_add_f64_e32 v[45:46], v[47:48], v[45:46]
	v_fma_f64 v[47:48], v[8:9], s[24:25], v[59:60]
	v_mul_f64_e32 v[59:60], s[52:53], v[122:123]
	v_mul_f64_e32 v[122:123], s[48:49], v[122:123]
	v_add_f64_e32 v[38:39], v[43:44], v[38:39]
	v_fma_f64 v[43:44], v[10:11], s[24:25], v[152:153]
	v_add_f64_e32 v[36:37], v[47:48], v[36:37]
	v_fma_f64 v[47:48], v[10:11], s[24:25], -v[152:153]
	v_mul_f64_e32 v[152:153], s[36:37], v[34:35]
	v_mul_f64_e32 v[34:35], s[44:45], v[34:35]
	v_add_f64_e32 v[41:42], v[43:44], v[41:42]
	v_fma_f64 v[43:44], v[4:5], s[18:19], -v[154:155]
	v_add_f64_e32 v[45:46], v[47:48], v[45:46]
	v_fma_f64 v[47:48], v[4:5], s[18:19], v[154:155]
	v_mul_f64_e32 v[154:155], s[48:49], v[32:33]
	v_mul_f64_e32 v[32:33], s[26:27], v[32:33]
	v_add_f64_e32 v[38:39], v[43:44], v[38:39]
	v_fma_f64 v[43:44], v[6:7], s[18:19], v[184:185]
	v_add_f64_e32 v[36:37], v[47:48], v[36:37]
	v_fma_f64 v[47:48], v[6:7], s[18:19], -v[184:185]
	v_mul_f64_e32 v[184:185], s[48:49], v[112:113]
	v_mul_f64_e32 v[112:113], s[26:27], v[112:113]
	v_add_f64_e32 v[43:44], v[43:44], v[41:42]
	v_fma_f64 v[41:42], v[0:1], s[12:13], -v[186:187]
	v_add_f64_e32 v[47:48], v[47:48], v[45:46]
	v_fma_f64 v[45:46], v[0:1], s[12:13], v[186:187]
	v_mul_f64_e32 v[186:187], s[26:27], v[30:31]
	s_delay_alu instid0(VALU_DEP_4) | instskip(SKIP_1) | instid1(VALU_DEP_4)
	v_add_f64_e32 v[41:42], v[41:42], v[38:39]
	v_mul_f64_e32 v[38:39], s[44:45], v[28:29]
	v_add_f64_e32 v[45:46], v[45:46], v[36:37]
	v_mul_f64_e32 v[36:37], s[44:45], v[130:131]
	s_delay_alu instid0(VALU_DEP_3) | instskip(SKIP_1) | instid1(VALU_DEP_2)
	v_fma_f64 v[188:189], v[2:3], s[12:13], v[38:39]
	v_fma_f64 v[38:39], v[2:3], s[12:13], -v[38:39]
	v_add_f64_e32 v[43:44], v[188:189], v[43:44]
	s_delay_alu instid0(VALU_DEP_2) | instskip(SKIP_2) | instid1(VALU_DEP_2)
	v_add_f64_e32 v[47:48], v[38:39], v[47:48]
	v_fma_f64 v[38:39], v[24:25], s[12:13], -v[36:37]
	v_fma_f64 v[36:37], v[24:25], s[12:13], v[36:37]
	v_add_f64_e32 v[38:39], v[38:39], v[146:147]
	s_delay_alu instid0(VALU_DEP_2) | instskip(SKIP_2) | instid1(VALU_DEP_4)
	v_add_f64_e32 v[36:37], v[36:37], v[142:143]
	v_mul_f64_e32 v[146:147], s[34:35], v[118:119]
	v_mul_f64_e32 v[118:119], s[28:29], v[118:119]
	v_add_f64_e32 v[38:39], v[51:52], v[38:39]
	v_fma_f64 v[51:52], v[22:23], s[20:21], v[57:58]
	v_add_f64_e32 v[36:37], v[55:56], v[36:37]
	v_fma_f64 v[55:56], v[22:23], s[20:21], -v[57:58]
	v_mul_f64_e32 v[57:58], s[46:47], v[128:129]
	v_fma_f64 v[128:129], v[20:21], s[16:17], -v[126:127]
	v_add_f64_e32 v[49:50], v[51:52], v[49:50]
	v_fma_f64 v[51:52], v[16:17], s[22:23], -v[59:60]
	v_add_f64_e32 v[53:54], v[55:56], v[53:54]
	v_fma_f64 v[55:56], v[16:17], s[22:23], v[59:60]
	v_fma_f64 v[59:60], v[26:27], s[2:3], v[57:58]
	s_delay_alu instid0(VALU_DEP_4) | instskip(SKIP_1) | instid1(VALU_DEP_4)
	v_add_f64_e32 v[38:39], v[51:52], v[38:39]
	v_fma_f64 v[51:52], v[18:19], s[22:23], v[144:145]
	v_add_f64_e32 v[36:37], v[55:56], v[36:37]
	v_fma_f64 v[55:56], v[18:19], s[22:23], -v[144:145]
	v_add_f64_e32 v[59:60], v[59:60], v[136:137]
	s_delay_alu instid0(VALU_DEP_4) | instskip(SKIP_1) | instid1(VALU_DEP_4)
	v_add_f64_e32 v[49:50], v[51:52], v[49:50]
	v_fma_f64 v[51:52], v[12:13], s[2:3], -v[146:147]
	v_add_f64_e32 v[53:54], v[55:56], v[53:54]
	v_fma_f64 v[55:56], v[12:13], s[2:3], v[146:147]
	s_delay_alu instid0(VALU_DEP_3) | instskip(SKIP_1) | instid1(VALU_DEP_3)
	v_add_f64_e32 v[38:39], v[51:52], v[38:39]
	v_fma_f64 v[51:52], v[14:15], s[2:3], v[148:149]
	v_add_f64_e32 v[36:37], v[55:56], v[36:37]
	v_fma_f64 v[55:56], v[14:15], s[2:3], -v[148:149]
	s_delay_alu instid0(VALU_DEP_3) | instskip(SKIP_1) | instid1(VALU_DEP_3)
	v_add_f64_e32 v[49:50], v[51:52], v[49:50]
	v_fma_f64 v[51:52], v[8:9], s[18:19], -v[150:151]
	v_add_f64_e32 v[53:54], v[55:56], v[53:54]
	v_fma_f64 v[55:56], v[8:9], s[18:19], v[150:151]
	s_delay_alu instid0(VALU_DEP_3) | instskip(SKIP_1) | instid1(VALU_DEP_3)
	v_add_f64_e32 v[38:39], v[51:52], v[38:39]
	v_fma_f64 v[51:52], v[10:11], s[18:19], v[152:153]
	v_add_f64_e32 v[36:37], v[55:56], v[36:37]
	v_fma_f64 v[55:56], v[10:11], s[18:19], -v[152:153]
	s_delay_alu instid0(VALU_DEP_3) | instskip(SKIP_1) | instid1(VALU_DEP_3)
	;; [unrolled: 10-line block ×3, first 2 shown]
	v_add_f64_e32 v[51:52], v[51:52], v[49:50]
	v_fma_f64 v[49:50], v[0:1], s[14:15], -v[186:187]
	v_add_f64_e32 v[55:56], v[55:56], v[53:54]
	v_fma_f64 v[53:54], v[0:1], s[14:15], v[186:187]
	s_delay_alu instid0(VALU_DEP_3) | instskip(SKIP_1) | instid1(VALU_DEP_3)
	v_add_f64_e32 v[49:50], v[49:50], v[38:39]
	v_mul_f64_e32 v[38:39], s[26:27], v[28:29]
	v_add_f64_e32 v[53:54], v[53:54], v[36:37]
	v_mul_f64_e32 v[36:37], s[46:47], v[130:131]
	v_mul_f64_e32 v[130:131], s[42:43], v[28:29]
	s_delay_alu instid0(VALU_DEP_4) | instskip(SKIP_1) | instid1(VALU_DEP_2)
	v_fma_f64 v[188:189], v[2:3], s[14:15], v[38:39]
	v_fma_f64 v[38:39], v[2:3], s[14:15], -v[38:39]
	v_add_f64_e32 v[51:52], v[188:189], v[51:52]
	s_delay_alu instid0(VALU_DEP_2) | instskip(SKIP_3) | instid1(VALU_DEP_3)
	v_add_f64_e32 v[55:56], v[38:39], v[55:56]
	v_fma_f64 v[38:39], v[24:25], s[2:3], -v[36:37]
	v_fma_f64 v[36:37], v[24:25], s[2:3], v[36:37]
	v_fma_f64 v[24:25], v[24:25], s[20:21], v[156:157]
	v_add_f64_e32 v[38:39], v[38:39], v[138:139]
	s_delay_alu instid0(VALU_DEP_3) | instskip(NEXT) | instid1(VALU_DEP_3)
	v_add_f64_e32 v[36:37], v[36:37], v[134:135]
	v_add_f64_e32 v[24:25], v[24:25], v[84:85]
	s_delay_alu instid0(VALU_DEP_3) | instskip(SKIP_1) | instid1(VALU_DEP_1)
	v_add_f64_e32 v[38:39], v[128:129], v[38:39]
	v_fma_f64 v[128:129], v[22:23], s[16:17], v[124:125]
	v_add_f64_e32 v[59:60], v[128:129], v[59:60]
	v_fma_f64 v[128:129], v[16:17], s[24:25], -v[122:123]
	s_delay_alu instid0(VALU_DEP_1) | instskip(SKIP_1) | instid1(VALU_DEP_1)
	v_add_f64_e32 v[38:39], v[128:129], v[38:39]
	v_fma_f64 v[128:129], v[18:19], s[24:25], v[120:121]
	v_add_f64_e32 v[59:60], v[128:129], v[59:60]
	v_fma_f64 v[128:129], v[12:13], s[22:23], -v[118:119]
	s_delay_alu instid0(VALU_DEP_1) | instskip(SKIP_1) | instid1(VALU_DEP_1)
	v_add_f64_e32 v[38:39], v[128:129], v[38:39]
	v_fma_f64 v[128:129], v[14:15], s[22:23], v[116:117]
	v_add_f64_e32 v[59:60], v[128:129], v[59:60]
	v_fma_f64 v[128:129], v[8:9], s[12:13], -v[114:115]
	s_delay_alu instid0(VALU_DEP_1) | instskip(SKIP_3) | instid1(VALU_DEP_3)
	v_add_f64_e32 v[38:39], v[128:129], v[38:39]
	v_fma_f64 v[128:129], v[10:11], s[12:13], v[34:35]
	v_fma_f64 v[34:35], v[10:11], s[12:13], -v[34:35]
	v_fma_f64 v[10:11], v[10:11], s[14:15], -v[174:175]
	v_add_f64_e32 v[59:60], v[128:129], v[59:60]
	v_fma_f64 v[128:129], v[4:5], s[14:15], -v[32:33]
	v_fma_f64 v[32:33], v[4:5], s[14:15], v[32:33]
	v_fma_f64 v[4:5], v[4:5], s[12:13], v[176:177]
	s_delay_alu instid0(VALU_DEP_3) | instskip(SKIP_1) | instid1(VALU_DEP_1)
	v_add_f64_e32 v[38:39], v[128:129], v[38:39]
	v_fma_f64 v[128:129], v[6:7], s[14:15], v[112:113]
	v_add_f64_e32 v[59:60], v[128:129], v[59:60]
	v_mul_f64_e32 v[128:129], s[42:43], v[30:31]
	v_fma_f64 v[30:31], v[2:3], s[20:21], v[130:131]
	s_delay_alu instid0(VALU_DEP_2) | instskip(NEXT) | instid1(VALU_DEP_2)
	v_fma_f64 v[28:29], v[0:1], s[20:21], -v[128:129]
	v_add_f64_e32 v[30:31], v[30:31], v[59:60]
	s_delay_alu instid0(VALU_DEP_2) | instskip(SKIP_4) | instid1(VALU_DEP_4)
	v_add_f64_e32 v[28:29], v[28:29], v[38:39]
	v_fma_f64 v[38:39], v[26:27], s[2:3], -v[57:58]
	v_fma_f64 v[57:58], v[20:21], s[16:17], v[126:127]
	v_fma_f64 v[26:27], v[26:27], s[20:21], -v[158:159]
	v_fma_f64 v[20:21], v[20:21], s[22:23], v[160:161]
	v_add_f64_e32 v[38:39], v[38:39], v[132:133]
	s_delay_alu instid0(VALU_DEP_4) | instskip(SKIP_4) | instid1(VALU_DEP_4)
	v_add_f64_e32 v[36:37], v[57:58], v[36:37]
	v_fma_f64 v[57:58], v[22:23], s[16:17], -v[124:125]
	v_fma_f64 v[22:23], v[22:23], s[22:23], -v[162:163]
	v_add_f64_e32 v[26:27], v[26:27], v[86:87]
	v_add_f64_e32 v[20:21], v[20:21], v[24:25]
	v_add_f64_e32 v[38:39], v[57:58], v[38:39]
	v_fma_f64 v[57:58], v[16:17], s[24:25], v[122:123]
	v_fma_f64 v[16:17], v[16:17], s[18:19], v[164:165]
	v_add_f64_e32 v[22:23], v[22:23], v[26:27]
	s_delay_alu instid0(VALU_DEP_3) | instskip(SKIP_3) | instid1(VALU_DEP_3)
	v_add_f64_e32 v[36:37], v[57:58], v[36:37]
	v_fma_f64 v[57:58], v[18:19], s[24:25], -v[120:121]
	v_fma_f64 v[18:19], v[18:19], s[18:19], -v[166:167]
	v_add_f64_e32 v[16:17], v[16:17], v[20:21]
	v_add_f64_e32 v[38:39], v[57:58], v[38:39]
	v_fma_f64 v[57:58], v[12:13], s[22:23], v[118:119]
	v_fma_f64 v[12:13], v[12:13], s[16:17], v[168:169]
	v_add_f64_e32 v[18:19], v[18:19], v[22:23]
	s_delay_alu instid0(VALU_DEP_3) | instskip(SKIP_3) | instid1(VALU_DEP_3)
	v_add_f64_e32 v[36:37], v[57:58], v[36:37]
	v_fma_f64 v[57:58], v[14:15], s[22:23], -v[116:117]
	v_fma_f64 v[14:15], v[14:15], s[16:17], -v[170:171]
	v_add_f64_e32 v[12:13], v[12:13], v[16:17]
                                        ; implicit-def: $vgpr116_vgpr117
	v_add_f64_e32 v[38:39], v[57:58], v[38:39]
	v_fma_f64 v[57:58], v[8:9], s[12:13], v[114:115]
	v_fma_f64 v[8:9], v[8:9], s[14:15], v[172:173]
	v_add_f64_e32 v[14:15], v[14:15], v[18:19]
	s_delay_alu instid0(VALU_DEP_4) | instskip(NEXT) | instid1(VALU_DEP_4)
	v_add_f64_e32 v[34:35], v[34:35], v[38:39]
	v_add_f64_e32 v[36:37], v[57:58], v[36:37]
	s_delay_alu instid0(VALU_DEP_4) | instskip(NEXT) | instid1(VALU_DEP_4)
	v_add_f64_e32 v[8:9], v[8:9], v[12:13]
	v_add_f64_e32 v[10:11], v[10:11], v[14:15]
	v_fma_f64 v[38:39], v[2:3], s[20:21], -v[130:131]
	v_fma_f64 v[2:3], v[2:3], s[2:3], -v[182:183]
	v_add_f64_e32 v[32:33], v[32:33], v[36:37]
	v_fma_f64 v[36:37], v[6:7], s[14:15], -v[112:113]
	v_fma_f64 v[6:7], v[6:7], s[12:13], -v[178:179]
	v_add_f64_e32 v[4:5], v[4:5], v[8:9]
	s_delay_alu instid0(VALU_DEP_3) | instskip(SKIP_3) | instid1(VALU_DEP_4)
	v_add_f64_e32 v[34:35], v[36:37], v[34:35]
	v_fma_f64 v[36:37], v[0:1], s[20:21], v[128:129]
	v_fma_f64 v[0:1], v[0:1], s[2:3], v[180:181]
	v_add_f64_e32 v[6:7], v[6:7], v[10:11]
	v_add_f64_e32 v[34:35], v[38:39], v[34:35]
	s_delay_alu instid0(VALU_DEP_4) | instskip(NEXT) | instid1(VALU_DEP_4)
	v_add_f64_e32 v[32:33], v[36:37], v[32:33]
	v_add_f64_e32 v[84:85], v[0:1], v[4:5]
	s_delay_alu instid0(VALU_DEP_4) | instskip(SKIP_1) | instid1(VALU_DEP_1)
	v_add_f64_e32 v[86:87], v[2:3], v[6:7]
	v_mul_lo_u16 v0, v40, 17
	v_and_b32_e32 v0, 0xffff, v0
	s_delay_alu instid0(VALU_DEP_1)
	v_lshlrev_b32_e32 v38, 4, v0
	ds_store_b128 v38, v[68:71] offset:16
	ds_store_b128 v38, v[80:83] offset:32
	;; [unrolled: 1-line block ×14, first 2 shown]
	ds_store_b128 v38, v[76:79]
	ds_store_b128 v38, v[84:87] offset:240
	ds_store_b128 v38, v[72:75] offset:256
	global_wb scope:SCOPE_SE
	s_wait_dscnt 0x0
	s_barrier_signal -1
	s_barrier_wait -1
	global_inv scope:SCOPE_SE
	ds_load_b128 v[96:99], v62
	ds_load_b128 v[144:147], v62 offset:4624
	ds_load_b128 v[140:143], v62 offset:9248
	;; [unrolled: 1-line block ×14, first 2 shown]
	v_add_co_u32 v0, s2, s8, v62
	s_wait_alu 0xf1ff
	v_add_co_ci_u32_e64 v1, null, s9, 0, s2
                                        ; implicit-def: $vgpr100_vgpr101
                                        ; implicit-def: $vgpr108_vgpr109
	s_and_saveexec_b32 s2, vcc_lo
	s_cbranch_execz .LBB0_3
; %bb.2:
	ds_load_b128 v[84:87], v62 offset:4080
	ds_load_b128 v[72:75], v62 offset:8704
	;; [unrolled: 1-line block ×5, first 2 shown]
.LBB0_3:
	s_wait_alu 0xfffe
	s_or_b32 exec_lo, exec_lo, s2
	v_and_b32_e32 v2, 0xff, v63
	s_mov_b32 s2, 0x134454ff
	s_mov_b32 s3, 0x3fee6f0e
	;; [unrolled: 1-line block ×3, first 2 shown]
	s_wait_alu 0xfffe
	s_mov_b32 s12, s2
	v_mul_lo_u16 v2, 0xf1, v2
	s_mov_b32 s14, 0x4755a5e
	s_mov_b32 s15, 0x3fe2cf23
	;; [unrolled: 1-line block ×3, first 2 shown]
	s_wait_alu 0xfffe
	s_mov_b32 s16, s14
	v_lshrrev_b16 v39, 12, v2
	s_mov_b32 s18, 0x372fe950
	s_mov_b32 s19, 0x3fd3c6ef
	s_delay_alu instid0(VALU_DEP_1) | instskip(SKIP_1) | instid1(VALU_DEP_2)
	v_mul_lo_u16 v2, v39, 17
	v_and_b32_e32 v36, 0xffff, v39
	v_sub_nc_u16 v2, v63, v2
	s_delay_alu instid0(VALU_DEP_2) | instskip(NEXT) | instid1(VALU_DEP_2)
	v_mul_u32_u24_e32 v36, 0x55, v36
	v_and_b32_e32 v40, 0xff, v2
	s_delay_alu instid0(VALU_DEP_1) | instskip(NEXT) | instid1(VALU_DEP_3)
	v_lshlrev_b32_e32 v4, 6, v40
	v_add_lshl_u32 v39, v36, v40, 4
	s_clause 0x3
	global_load_b128 v[148:151], v4, s[10:11]
	global_load_b128 v[156:159], v4, s[10:11] offset:16
	global_load_b128 v[152:155], v4, s[10:11] offset:32
	;; [unrolled: 1-line block ×3, first 2 shown]
	s_wait_loadcnt_dscnt 0x30d
	v_mul_f64_e32 v[2:3], v[146:147], v[150:151]
	s_delay_alu instid0(VALU_DEP_1) | instskip(SKIP_1) | instid1(VALU_DEP_1)
	v_fma_f64 v[196:197], v[144:145], v[148:149], -v[2:3]
	v_mul_f64_e32 v[2:3], v[144:145], v[150:151]
	v_fma_f64 v[144:145], v[146:147], v[148:149], v[2:3]
	s_wait_loadcnt_dscnt 0x20c
	v_mul_f64_e32 v[2:3], v[142:143], v[158:159]
	s_delay_alu instid0(VALU_DEP_1) | instskip(SKIP_1) | instid1(VALU_DEP_1)
	v_fma_f64 v[146:147], v[140:141], v[156:157], -v[2:3]
	v_mul_f64_e32 v[2:3], v[140:141], v[158:159]
	v_fma_f64 v[140:141], v[142:143], v[156:157], v[2:3]
	;; [unrolled: 6-line block ×3, first 2 shown]
	s_wait_loadcnt_dscnt 0xa
	v_mul_f64_e32 v[2:3], v[132:133], v[162:163]
	s_delay_alu instid0(VALU_DEP_2) | instskip(NEXT) | instid1(VALU_DEP_2)
	v_add_f64_e64 v[59:60], v[140:141], -v[136:137]
	v_fma_f64 v[138:139], v[134:135], v[160:161], v[2:3]
	v_mul_f64_e32 v[2:3], v[134:135], v[162:163]
	s_delay_alu instid0(VALU_DEP_2) | instskip(NEXT) | instid1(VALU_DEP_2)
	v_add_f64_e64 v[57:58], v[144:145], -v[138:139]
	v_fma_f64 v[134:135], v[132:133], v[160:161], -v[2:3]
	v_add_nc_u16 v2, v63, 0x55
	s_delay_alu instid0(VALU_DEP_1) | instskip(NEXT) | instid1(VALU_DEP_1)
	v_and_b32_e32 v3, 0xff, v2
	v_mul_lo_u16 v3, 0xf1, v3
	s_delay_alu instid0(VALU_DEP_1) | instskip(NEXT) | instid1(VALU_DEP_1)
	v_lshrrev_b16 v41, 12, v3
	v_mul_lo_u16 v3, v41, 17
	s_delay_alu instid0(VALU_DEP_1) | instskip(NEXT) | instid1(VALU_DEP_1)
	v_sub_nc_u16 v2, v2, v3
	v_and_b32_e32 v42, 0xff, v2
	s_delay_alu instid0(VALU_DEP_1)
	v_lshlrev_b32_e32 v4, 6, v42
	s_clause 0x3
	global_load_b128 v[164:167], v4, s[10:11]
	global_load_b128 v[168:171], v4, s[10:11] offset:16
	global_load_b128 v[172:175], v4, s[10:11] offset:32
	global_load_b128 v[176:179], v4, s[10:11] offset:48
	s_wait_loadcnt_dscnt 0x308
	v_mul_f64_e32 v[2:3], v[130:131], v[166:167]
	s_delay_alu instid0(VALU_DEP_1) | instskip(SKIP_1) | instid1(VALU_DEP_1)
	v_fma_f64 v[132:133], v[128:129], v[164:165], -v[2:3]
	v_mul_f64_e32 v[2:3], v[128:129], v[166:167]
	v_fma_f64 v[34:35], v[130:131], v[164:165], v[2:3]
	s_wait_loadcnt_dscnt 0x207
	v_mul_f64_e32 v[2:3], v[126:127], v[170:171]
	s_delay_alu instid0(VALU_DEP_1) | instskip(SKIP_1) | instid1(VALU_DEP_1)
	v_fma_f64 v[128:129], v[124:125], v[168:169], -v[2:3]
	v_mul_f64_e32 v[2:3], v[124:125], v[170:171]
	v_fma_f64 v[124:125], v[126:127], v[168:169], v[2:3]
	s_wait_loadcnt_dscnt 0x106
	v_mul_f64_e32 v[2:3], v[122:123], v[174:175]
	s_delay_alu instid0(VALU_DEP_1) | instskip(SKIP_1) | instid1(VALU_DEP_1)
	v_fma_f64 v[126:127], v[120:121], v[172:173], -v[2:3]
	v_mul_f64_e32 v[2:3], v[120:121], v[174:175]
	v_fma_f64 v[120:121], v[122:123], v[172:173], v[2:3]
	s_wait_loadcnt_dscnt 0x5
	v_mul_f64_e32 v[2:3], v[112:113], v[178:179]
	s_delay_alu instid0(VALU_DEP_1) | instskip(SKIP_1) | instid1(VALU_DEP_1)
	v_fma_f64 v[122:123], v[114:115], v[176:177], v[2:3]
	v_mul_f64_e32 v[2:3], v[114:115], v[178:179]
	v_fma_f64 v[112:113], v[112:113], v[176:177], -v[2:3]
	v_add_nc_u16 v2, v63, 0xaa
	s_delay_alu instid0(VALU_DEP_1) | instskip(NEXT) | instid1(VALU_DEP_1)
	v_and_b32_e32 v3, 0xff, v2
	v_mul_lo_u16 v3, 0xf1, v3
	s_delay_alu instid0(VALU_DEP_1) | instskip(NEXT) | instid1(VALU_DEP_1)
	v_lshrrev_b16 v43, 12, v3
	v_mul_lo_u16 v3, v43, 17
	s_delay_alu instid0(VALU_DEP_1) | instskip(NEXT) | instid1(VALU_DEP_1)
	v_sub_nc_u16 v2, v2, v3
	v_and_b32_e32 v44, 0xff, v2
	s_delay_alu instid0(VALU_DEP_1)
	v_lshlrev_b32_e32 v4, 6, v44
	s_clause 0x3
	global_load_b128 v[184:187], v4, s[10:11]
	global_load_b128 v[180:183], v4, s[10:11] offset:16
	global_load_b128 v[188:191], v4, s[10:11] offset:32
	;; [unrolled: 1-line block ×3, first 2 shown]
	s_wait_loadcnt_dscnt 0x303
	v_mul_f64_e32 v[2:3], v[106:107], v[186:187]
	s_delay_alu instid0(VALU_DEP_1) | instskip(SKIP_1) | instid1(VALU_DEP_1)
	v_fma_f64 v[20:21], v[104:105], v[184:185], -v[2:3]
	v_mul_f64_e32 v[2:3], v[104:105], v[186:187]
	v_fma_f64 v[18:19], v[106:107], v[184:185], v[2:3]
	s_wait_loadcnt_dscnt 0x202
	v_mul_f64_e32 v[2:3], v[82:83], v[182:183]
	s_delay_alu instid0(VALU_DEP_1) | instskip(SKIP_1) | instid1(VALU_DEP_1)
	v_fma_f64 v[24:25], v[80:81], v[180:181], -v[2:3]
	v_mul_f64_e32 v[2:3], v[80:81], v[182:183]
	v_fma_f64 v[26:27], v[82:83], v[180:181], v[2:3]
	;; [unrolled: 6-line block ×4, first 2 shown]
	v_add_nc_u16 v2, v63, 0xff
	s_delay_alu instid0(VALU_DEP_1) | instskip(NEXT) | instid1(VALU_DEP_1)
	v_and_b32_e32 v3, 0xffff, v2
	v_mul_u32_u24_e32 v3, 0xf0f1, v3
	s_delay_alu instid0(VALU_DEP_1) | instskip(SKIP_2) | instid1(VALU_DEP_1)
	v_lshrrev_b32_e32 v3, 20, v3
	scratch_store_b32 off, v3, off offset:332 ; 4-byte Folded Spill
	v_mul_lo_u16 v3, v3, 17
	v_sub_nc_u16 v2, v2, v3
	scratch_store_b32 off, v2, off offset:340 ; 4-byte Folded Spill
	v_lshlrev_b16 v2, 2, v2
	s_delay_alu instid0(VALU_DEP_1) | instskip(NEXT) | instid1(VALU_DEP_1)
	v_and_b32_e32 v2, 0xffff, v2
	v_lshlrev_b32_e32 v14, 4, v2
	s_clause 0x3
	global_load_b128 v[4:7], v14, s[10:11]
	global_load_b128 v[10:13], v14, s[10:11] offset:16
	global_load_b128 v[45:48], v14, s[10:11] offset:32
	;; [unrolled: 1-line block ×3, first 2 shown]
	s_wait_loadcnt 0x3
	v_mul_f64_e32 v[2:3], v[74:75], v[6:7]
	scratch_store_b128 off, v[4:7], off offset:372 ; 16-byte Folded Spill
	s_wait_loadcnt 0x2
	scratch_store_b128 off, v[10:13], off offset:388 ; 16-byte Folded Spill
	s_wait_loadcnt 0x1
	scratch_store_b128 off, v[45:48], off offset:404 ; 16-byte Folded Spill
	global_wb scope:SCOPE_SE
	s_wait_loadcnt 0x0
	s_wait_storecnt 0x0
	s_barrier_signal -1
	s_barrier_wait -1
	global_inv scope:SCOPE_SE
	v_mul_f64_e32 v[14:15], v[116:117], v[82:83]
	v_fma_f64 v[8:9], v[72:73], v[4:5], -v[2:3]
	v_mul_f64_e32 v[2:3], v[72:73], v[6:7]
	v_mul_f64_e32 v[6:7], v[108:109], v[47:48]
	s_delay_alu instid0(VALU_DEP_4) | instskip(NEXT) | instid1(VALU_DEP_3)
	v_fma_f64 v[14:15], v[118:119], v[80:81], v[14:15]
	v_fma_f64 v[16:17], v[74:75], v[4:5], v[2:3]
	v_mul_f64_e32 v[2:3], v[102:103], v[12:13]
	s_delay_alu instid0(VALU_DEP_1) | instskip(SKIP_2) | instid1(VALU_DEP_2)
	v_fma_f64 v[4:5], v[100:101], v[10:11], -v[2:3]
	v_mul_f64_e32 v[2:3], v[100:101], v[12:13]
	v_add_f64_e64 v[100:101], v[196:197], -v[134:135]
	v_fma_f64 v[12:13], v[102:103], v[10:11], v[2:3]
	v_mul_f64_e32 v[2:3], v[110:111], v[47:48]
	v_fma_f64 v[10:11], v[110:111], v[45:46], v[6:7]
	v_add_f64_e64 v[47:48], v[134:135], -v[142:143]
	v_add_f64_e64 v[102:103], v[146:147], -v[142:143]
	;; [unrolled: 1-line block ×3, first 2 shown]
	v_mul_f64_e32 v[6:7], v[118:119], v[82:83]
	v_add_f64_e64 v[118:119], v[128:129], -v[132:133]
	v_fma_f64 v[2:3], v[108:109], v[45:46], -v[2:3]
	v_add_f64_e64 v[45:46], v[196:197], -v[146:147]
	v_add_f64_e64 v[108:109], v[142:143], -v[134:135]
	v_fma_f64 v[6:7], v[116:117], v[80:81], -v[6:7]
	v_add_f64_e64 v[116:117], v[128:129], -v[126:127]
	s_delay_alu instid0(VALU_DEP_4) | instskip(SKIP_2) | instid1(VALU_DEP_1)
	v_add_f64_e32 v[49:50], v[45:46], v[47:48]
	v_add_f64_e64 v[45:46], v[144:145], -v[140:141]
	v_add_f64_e64 v[47:48], v[138:139], -v[136:137]
	v_add_f64_e32 v[51:52], v[45:46], v[47:48]
	v_add_f64_e32 v[45:46], v[146:147], v[142:143]
	s_delay_alu instid0(VALU_DEP_1) | instskip(SKIP_1) | instid1(VALU_DEP_1)
	v_fma_f64 v[53:54], v[45:46], -0.5, v[96:97]
	v_add_f64_e32 v[45:46], v[140:141], v[136:137]
	v_fma_f64 v[55:56], v[45:46], -0.5, v[98:99]
	s_delay_alu instid0(VALU_DEP_3) | instskip(SKIP_1) | instid1(VALU_DEP_3)
	v_fma_f64 v[45:46], v[57:58], s[2:3], v[53:54]
	v_fma_f64 v[53:54], v[57:58], s[12:13], v[53:54]
	v_fma_f64 v[47:48], v[100:101], s[12:13], v[55:56]
	s_delay_alu instid0(VALU_DEP_3) | instskip(SKIP_1) | instid1(VALU_DEP_3)
	v_fma_f64 v[45:46], v[59:60], s[14:15], v[45:46]
	s_wait_alu 0xfffe
	v_fma_f64 v[53:54], v[59:60], s[16:17], v[53:54]
	v_fma_f64 v[55:56], v[100:101], s[2:3], v[55:56]
	s_delay_alu instid0(VALU_DEP_4) | instskip(NEXT) | instid1(VALU_DEP_4)
	v_fma_f64 v[47:48], v[102:103], s[16:17], v[47:48]
	v_fma_f64 v[45:46], v[49:50], s[18:19], v[45:46]
	s_delay_alu instid0(VALU_DEP_4) | instskip(SKIP_3) | instid1(VALU_DEP_3)
	v_fma_f64 v[49:50], v[49:50], s[18:19], v[53:54]
	v_add_f64_e32 v[53:54], v[196:197], v[134:135]
	v_fma_f64 v[55:56], v[102:103], s[14:15], v[55:56]
	v_fma_f64 v[47:48], v[51:52], s[18:19], v[47:48]
	v_fma_f64 v[104:105], v[53:54], -0.5, v[96:97]
	v_add_f64_e32 v[53:54], v[144:145], v[138:139]
	s_delay_alu instid0(VALU_DEP_4) | instskip(SKIP_1) | instid1(VALU_DEP_4)
	v_fma_f64 v[51:52], v[51:52], s[18:19], v[55:56]
	v_add_f64_e32 v[55:56], v[98:99], v[144:145]
	v_fma_f64 v[114:115], v[59:60], s[12:13], v[104:105]
	s_delay_alu instid0(VALU_DEP_4) | instskip(SKIP_1) | instid1(VALU_DEP_4)
	v_fma_f64 v[106:107], v[53:54], -0.5, v[98:99]
	v_add_f64_e32 v[53:54], v[96:97], v[196:197]
	v_add_f64_e32 v[55:56], v[55:56], v[140:141]
	v_add_f64_e64 v[96:97], v[146:147], -v[196:197]
	v_add_f64_e64 v[98:99], v[140:141], -v[144:145]
	v_fma_f64 v[59:60], v[59:60], s[2:3], v[104:105]
	v_fma_f64 v[104:105], v[102:103], s[2:3], v[106:107]
	v_add_f64_e32 v[53:54], v[53:54], v[146:147]
	v_add_f64_e32 v[55:56], v[55:56], v[136:137]
	v_fma_f64 v[102:103], v[102:103], s[12:13], v[106:107]
	v_add_f64_e32 v[96:97], v[96:97], v[108:109]
	v_add_f64_e32 v[98:99], v[98:99], v[110:111]
	v_fma_f64 v[108:109], v[57:58], s[16:17], v[59:60]
	v_fma_f64 v[106:107], v[57:58], s[14:15], v[114:115]
	v_add_f64_e64 v[110:111], v[124:125], -v[120:121]
	v_add_f64_e64 v[114:115], v[132:133], -v[112:113]
	v_fma_f64 v[59:60], v[100:101], s[16:17], v[104:105]
	v_add_f64_e32 v[53:54], v[53:54], v[142:143]
	v_add_f64_e32 v[55:56], v[55:56], v[138:139]
	v_fma_f64 v[100:101], v[100:101], s[14:15], v[102:103]
	v_fma_f64 v[57:58], v[96:97], s[18:19], v[106:107]
	;; [unrolled: 1-line block ×3, first 2 shown]
	v_add_f64_e64 v[108:109], v[34:35], -v[122:123]
	v_fma_f64 v[59:60], v[98:99], s[18:19], v[59:60]
	v_add_f64_e32 v[53:54], v[53:54], v[134:135]
	v_fma_f64 v[98:99], v[98:99], s[18:19], v[100:101]
	ds_store_b128 v39, v[53:56]
	v_add_f64_e64 v[53:54], v[132:133], -v[128:129]
	v_add_f64_e64 v[55:56], v[112:113], -v[126:127]
	s_delay_alu instid0(VALU_DEP_1) | instskip(SKIP_2) | instid1(VALU_DEP_1)
	v_add_f64_e32 v[100:101], v[53:54], v[55:56]
	v_add_f64_e64 v[53:54], v[34:35], -v[124:125]
	v_add_f64_e64 v[55:56], v[122:123], -v[120:121]
	v_add_f64_e32 v[102:103], v[53:54], v[55:56]
	v_add_f64_e32 v[53:54], v[128:129], v[126:127]
	s_delay_alu instid0(VALU_DEP_1) | instskip(SKIP_1) | instid1(VALU_DEP_1)
	v_fma_f64 v[104:105], v[53:54], -0.5, v[92:93]
	v_add_f64_e32 v[53:54], v[124:125], v[120:121]
	v_fma_f64 v[106:107], v[53:54], -0.5, v[94:95]
	s_delay_alu instid0(VALU_DEP_3) | instskip(SKIP_1) | instid1(VALU_DEP_3)
	v_fma_f64 v[53:54], v[108:109], s[2:3], v[104:105]
	v_fma_f64 v[104:105], v[108:109], s[12:13], v[104:105]
	;; [unrolled: 1-line block ×3, first 2 shown]
	s_delay_alu instid0(VALU_DEP_3) | instskip(SKIP_1) | instid1(VALU_DEP_4)
	v_fma_f64 v[53:54], v[110:111], s[14:15], v[53:54]
	v_fma_f64 v[106:107], v[114:115], s[2:3], v[106:107]
	;; [unrolled: 1-line block ×3, first 2 shown]
	s_delay_alu instid0(VALU_DEP_4) | instskip(NEXT) | instid1(VALU_DEP_4)
	v_fma_f64 v[55:56], v[116:117], s[16:17], v[55:56]
	v_fma_f64 v[53:54], v[100:101], s[18:19], v[53:54]
	s_delay_alu instid0(VALU_DEP_4) | instskip(NEXT) | instid1(VALU_DEP_4)
	v_fma_f64 v[106:107], v[116:117], s[14:15], v[106:107]
	v_fma_f64 v[100:101], v[100:101], s[18:19], v[104:105]
	v_add_f64_e32 v[104:105], v[132:133], v[112:113]
	v_fma_f64 v[55:56], v[102:103], s[18:19], v[55:56]
	s_delay_alu instid0(VALU_DEP_4) | instskip(SKIP_1) | instid1(VALU_DEP_4)
	v_fma_f64 v[102:103], v[102:103], s[18:19], v[106:107]
	v_add_f64_e32 v[106:107], v[34:35], v[122:123]
	v_fma_f64 v[104:105], v[104:105], -0.5, v[92:93]
	v_add_f64_e32 v[92:93], v[92:93], v[132:133]
	s_delay_alu instid0(VALU_DEP_3) | instskip(SKIP_1) | instid1(VALU_DEP_3)
	v_fma_f64 v[106:107], v[106:107], -0.5, v[94:95]
	v_add_f64_e32 v[94:95], v[94:95], v[34:35]
	v_add_f64_e32 v[92:93], v[92:93], v[128:129]
	v_add_f64_e64 v[34:35], v[124:125], -v[34:35]
	v_add_f64_e64 v[128:129], v[24:25], -v[28:29]
	s_delay_alu instid0(VALU_DEP_4) | instskip(NEXT) | instid1(VALU_DEP_4)
	v_add_f64_e32 v[94:95], v[94:95], v[124:125]
	v_add_f64_e32 v[92:93], v[92:93], v[126:127]
	v_add_f64_e64 v[124:125], v[126:127], -v[112:113]
	v_add_f64_e64 v[126:127], v[20:21], -v[30:31]
	s_delay_alu instid0(VALU_DEP_4) | instskip(NEXT) | instid1(VALU_DEP_4)
	v_add_f64_e32 v[94:95], v[94:95], v[120:121]
	v_add_f64_e32 v[92:93], v[92:93], v[112:113]
	v_add_f64_e64 v[112:113], v[120:121], -v[122:123]
	v_fma_f64 v[120:121], v[110:111], s[12:13], v[104:105]
	v_fma_f64 v[104:105], v[110:111], s[2:3], v[104:105]
	;; [unrolled: 1-line block ×4, first 2 shown]
	v_add_f64_e32 v[116:117], v[118:119], v[124:125]
	v_add_f64_e64 v[124:125], v[26:27], -v[22:23]
	v_add_f64_e32 v[94:95], v[94:95], v[122:123]
	v_add_f64_e64 v[122:123], v[18:19], -v[32:33]
	v_add_f64_e32 v[34:35], v[34:35], v[112:113]
	v_fma_f64 v[112:113], v[108:109], s[14:15], v[120:121]
	v_fma_f64 v[108:109], v[108:109], s[16:17], v[104:105]
	;; [unrolled: 1-line block ×4, first 2 shown]
	s_delay_alu instid0(VALU_DEP_4) | instskip(SKIP_1) | instid1(VALU_DEP_4)
	v_fma_f64 v[104:105], v[116:117], s[18:19], v[112:113]
	v_add_f64_e64 v[112:113], v[30:31], -v[28:29]
	v_fma_f64 v[106:107], v[34:35], s[18:19], v[110:111]
	s_delay_alu instid0(VALU_DEP_4) | instskip(SKIP_3) | instid1(VALU_DEP_3)
	v_fma_f64 v[110:111], v[34:35], s[18:19], v[114:115]
	v_add_f64_e64 v[34:35], v[20:21], -v[24:25]
	v_add_f64_e64 v[114:115], v[32:33], -v[22:23]
	v_fma_f64 v[108:109], v[116:117], s[18:19], v[108:109]
	v_add_f64_e32 v[34:35], v[34:35], v[112:113]
	v_add_f64_e64 v[112:113], v[18:19], -v[26:27]
	s_delay_alu instid0(VALU_DEP_1) | instskip(SKIP_1) | instid1(VALU_DEP_1)
	v_add_f64_e32 v[118:119], v[112:113], v[114:115]
	v_add_f64_e32 v[112:113], v[24:25], v[28:29]
	v_fma_f64 v[116:117], v[112:113], -0.5, v[88:89]
	v_add_f64_e32 v[112:113], v[26:27], v[22:23]
	s_delay_alu instid0(VALU_DEP_1) | instskip(NEXT) | instid1(VALU_DEP_3)
	v_fma_f64 v[120:121], v[112:113], -0.5, v[90:91]
	v_fma_f64 v[112:113], v[122:123], s[2:3], v[116:117]
	v_fma_f64 v[116:117], v[122:123], s[12:13], v[116:117]
	s_delay_alu instid0(VALU_DEP_3) | instskip(SKIP_1) | instid1(VALU_DEP_4)
	v_fma_f64 v[114:115], v[126:127], s[12:13], v[120:121]
	v_fma_f64 v[120:121], v[126:127], s[2:3], v[120:121]
	v_fma_f64 v[112:113], v[124:125], s[14:15], v[112:113]
	s_delay_alu instid0(VALU_DEP_4) | instskip(NEXT) | instid1(VALU_DEP_4)
	v_fma_f64 v[116:117], v[124:125], s[16:17], v[116:117]
	v_fma_f64 v[114:115], v[128:129], s[16:17], v[114:115]
	s_delay_alu instid0(VALU_DEP_4) | instskip(NEXT) | instid1(VALU_DEP_4)
	v_fma_f64 v[120:121], v[128:129], s[14:15], v[120:121]
	v_fma_f64 v[112:113], v[34:35], s[18:19], v[112:113]
	s_delay_alu instid0(VALU_DEP_4) | instskip(SKIP_4) | instid1(VALU_DEP_4)
	v_fma_f64 v[116:117], v[34:35], s[18:19], v[116:117]
	v_add_f64_e32 v[34:35], v[20:21], v[30:31]
	v_fma_f64 v[114:115], v[118:119], s[18:19], v[114:115]
	v_fma_f64 v[118:119], v[118:119], s[18:19], v[120:121]
	v_add_f64_e32 v[120:121], v[18:19], v[32:33]
	v_fma_f64 v[34:35], v[34:35], -0.5, v[88:89]
	v_add_f64_e32 v[88:89], v[88:89], v[20:21]
	v_add_f64_e64 v[20:21], v[24:25], -v[20:21]
	s_delay_alu instid0(VALU_DEP_4) | instskip(SKIP_3) | instid1(VALU_DEP_3)
	v_fma_f64 v[120:121], v[120:121], -0.5, v[90:91]
	v_add_f64_e32 v[90:91], v[90:91], v[18:19]
	v_add_f64_e64 v[18:19], v[26:27], -v[18:19]
	v_add_f64_e32 v[24:25], v[88:89], v[24:25]
	v_add_f64_e32 v[88:89], v[90:91], v[26:27]
	v_add_f64_e64 v[90:91], v[28:29], -v[30:31]
	s_delay_alu instid0(VALU_DEP_3) | instskip(NEXT) | instid1(VALU_DEP_3)
	v_add_f64_e32 v[24:25], v[24:25], v[28:29]
	v_add_f64_e32 v[88:89], v[88:89], v[22:23]
	v_add_f64_e64 v[22:23], v[22:23], -v[32:33]
	s_delay_alu instid0(VALU_DEP_3)
	v_add_f64_e32 v[26:27], v[24:25], v[30:31]
	v_fma_f64 v[24:25], v[124:125], s[12:13], v[34:35]
	v_fma_f64 v[30:31], v[124:125], s[2:3], v[34:35]
	;; [unrolled: 1-line block ×3, first 2 shown]
	v_add_f64_e32 v[20:21], v[20:21], v[90:91]
	v_add_f64_e32 v[28:29], v[88:89], v[32:33]
	v_fma_f64 v[32:33], v[128:129], s[2:3], v[120:121]
	v_add_f64_e32 v[18:19], v[18:19], v[22:23]
	v_fma_f64 v[22:23], v[122:123], s[14:15], v[24:25]
	v_fma_f64 v[24:25], v[122:123], s[16:17], v[30:31]
	;; [unrolled: 1-line block ×4, first 2 shown]
	s_delay_alu instid0(VALU_DEP_4) | instskip(NEXT) | instid1(VALU_DEP_4)
	v_fma_f64 v[30:31], v[20:21], s[18:19], v[22:23]
	v_fma_f64 v[88:89], v[20:21], s[18:19], v[24:25]
	s_delay_alu instid0(VALU_DEP_4) | instskip(SKIP_4) | instid1(VALU_DEP_1)
	v_fma_f64 v[90:91], v[18:19], s[18:19], v[34:35]
	v_add_f64_e64 v[20:21], v[2:3], -v[6:7]
	v_add_f64_e64 v[24:25], v[8:9], -v[6:7]
	v_fma_f64 v[32:33], v[18:19], s[18:19], v[32:33]
	v_add_f64_e64 v[18:19], v[4:5], -v[8:9]
	v_add_f64_e32 v[34:35], v[18:19], v[20:21]
	v_add_f64_e64 v[18:19], v[12:13], -v[16:17]
	v_add_f64_e64 v[20:21], v[10:11], -v[14:15]
	s_delay_alu instid0(VALU_DEP_1) | instskip(SKIP_2) | instid1(VALU_DEP_2)
	v_add_f64_e32 v[120:121], v[18:19], v[20:21]
	v_add_f64_e32 v[18:19], v[8:9], v[6:7]
	v_add_f64_e64 v[20:21], v[16:17], -v[14:15]
	v_fma_f64 v[122:123], v[18:19], -0.5, v[84:85]
	v_add_f64_e32 v[18:19], v[16:17], v[14:15]
	s_delay_alu instid0(VALU_DEP_1) | instskip(SKIP_1) | instid1(VALU_DEP_1)
	v_fma_f64 v[124:125], v[18:19], -0.5, v[86:87]
	v_add_f64_e64 v[18:19], v[12:13], -v[10:11]
	v_fma_f64 v[22:23], v[18:19], s[12:13], v[122:123]
	v_fma_f64 v[122:123], v[18:19], s[2:3], v[122:123]
	s_delay_alu instid0(VALU_DEP_2) | instskip(SKIP_1) | instid1(VALU_DEP_3)
	v_fma_f64 v[126:127], v[20:21], s[14:15], v[22:23]
	v_add_f64_e64 v[22:23], v[4:5], -v[2:3]
	v_fma_f64 v[122:123], v[20:21], s[16:17], v[122:123]
	s_delay_alu instid0(VALU_DEP_3) | instskip(NEXT) | instid1(VALU_DEP_3)
	v_fma_f64 v[64:65], v[34:35], s[18:19], v[126:127]
	v_fma_f64 v[128:129], v[22:23], s[2:3], v[124:125]
	;; [unrolled: 1-line block ×3, first 2 shown]
	s_delay_alu instid0(VALU_DEP_4) | instskip(NEXT) | instid1(VALU_DEP_3)
	v_fma_f64 v[34:35], v[34:35], s[18:19], v[122:123]
	v_fma_f64 v[128:129], v[24:25], s[16:17], v[128:129]
	s_delay_alu instid0(VALU_DEP_3) | instskip(NEXT) | instid1(VALU_DEP_2)
	v_fma_f64 v[124:125], v[24:25], s[14:15], v[124:125]
	v_fma_f64 v[66:67], v[120:121], s[18:19], v[128:129]
	s_delay_alu instid0(VALU_DEP_2)
	v_fma_f64 v[36:37], v[120:121], s[18:19], v[124:125]
	s_clause 0x1
	scratch_store_b128 off, v[64:67], off
	scratch_store_b128 off, v[34:37], off offset:16
	v_and_b32_e32 v34, 0xffff, v41
	ds_store_b128 v39, v[45:48] offset:272
	ds_store_b128 v39, v[57:60] offset:544
	;; [unrolled: 1-line block ×3, first 2 shown]
	scratch_store_b32 off, v39, off offset:348 ; 4-byte Folded Spill
	ds_store_b128 v39, v[49:52] offset:1088
	v_mul_u32_u24_e32 v34, 0x55, v34
	s_delay_alu instid0(VALU_DEP_1)
	v_add_lshl_u32 v41, v34, v42, 4
	v_and_b32_e32 v34, 0xffff, v43
	ds_store_b128 v41, v[92:95]
	ds_store_b128 v41, v[53:56] offset:272
	ds_store_b128 v41, v[104:107] offset:544
	ds_store_b128 v41, v[108:111] offset:816
	ds_store_b128 v41, v[100:103] offset:1088
	v_mul_u32_u24_e32 v34, 0x55, v34
	s_delay_alu instid0(VALU_DEP_1)
	v_add_lshl_u32 v65, v34, v44, 4
	ds_store_b128 v65, v[26:29]
	ds_store_b128 v65, v[112:115] offset:272
	ds_store_b128 v65, v[30:33] offset:544
	ds_store_b128 v65, v[88:91] offset:816
	ds_store_b128 v65, v[116:119] offset:1088
	v_add_f64_e64 v[26:27], v[8:9], -v[4:5]
	v_add_f64_e64 v[28:29], v[6:7], -v[2:3]
	;; [unrolled: 1-line block ×3, first 2 shown]
	v_add_f64_e32 v[32:33], v[12:13], v[10:11]
	s_delay_alu instid0(VALU_DEP_3) | instskip(SKIP_1) | instid1(VALU_DEP_3)
	v_add_f64_e32 v[26:27], v[26:27], v[28:29]
	v_add_f64_e64 v[28:29], v[16:17], -v[12:13]
	v_fma_f64 v[32:33], v[32:33], -0.5, v[86:87]
	s_delay_alu instid0(VALU_DEP_2) | instskip(SKIP_1) | instid1(VALU_DEP_3)
	v_add_f64_e32 v[28:29], v[28:29], v[30:31]
	v_add_f64_e32 v[30:31], v[4:5], v[2:3]
	v_fma_f64 v[42:43], v[24:25], s[2:3], v[32:33]
	s_delay_alu instid0(VALU_DEP_2) | instskip(NEXT) | instid1(VALU_DEP_2)
	v_fma_f64 v[30:31], v[30:31], -0.5, v[84:85]
	v_fma_f64 v[42:43], v[22:23], s[14:15], v[42:43]
	s_delay_alu instid0(VALU_DEP_2) | instskip(NEXT) | instid1(VALU_DEP_2)
	v_fma_f64 v[34:35], v[20:21], s[12:13], v[30:31]
	v_fma_f64 v[36:37], v[28:29], s[18:19], v[42:43]
	s_delay_alu instid0(VALU_DEP_2) | instskip(NEXT) | instid1(VALU_DEP_1)
	v_fma_f64 v[34:35], v[18:19], s[16:17], v[34:35]
	v_fma_f64 v[34:35], v[26:27], s[18:19], v[34:35]
	scratch_store_b128 off, v[34:37], off offset:32 ; 16-byte Folded Spill
	s_and_saveexec_b32 s12, vcc_lo
	s_cbranch_execz .LBB0_5
; %bb.4:
	v_add_f64_e32 v[16:17], v[86:87], v[16:17]
	v_add_f64_e32 v[8:9], v[84:85], v[8:9]
	v_mul_f64_e32 v[20:21], s[2:3], v[20:21]
	v_mul_f64_e32 v[18:19], s[14:15], v[18:19]
	;; [unrolled: 1-line block ×4, first 2 shown]
	v_add_f64_e32 v[12:13], v[16:17], v[12:13]
	v_add_f64_e32 v[4:5], v[8:9], v[4:5]
	;; [unrolled: 1-line block ×3, first 2 shown]
	v_mul_f64_e32 v[16:17], s[18:19], v[26:27]
	v_add_f64_e64 v[24:25], v[32:33], -v[24:25]
	v_mul_f64_e32 v[20:21], s[18:19], v[28:29]
	v_add_f64_e32 v[10:11], v[12:13], v[10:11]
	v_add_f64_e32 v[2:3], v[4:5], v[2:3]
	;; [unrolled: 1-line block ×3, first 2 shown]
	v_add_f64_e64 v[22:23], v[24:25], -v[22:23]
	s_delay_alu instid0(VALU_DEP_4)
	v_add_f64_e32 v[8:9], v[10:11], v[14:15]
	s_clause 0x1
	scratch_load_b32 v10, off, off offset:332
	scratch_load_b32 v11, off, off offset:340
	v_add_f64_e32 v[6:7], v[2:3], v[6:7]
	v_add_f64_e32 v[2:3], v[16:17], v[12:13]
	v_add_f64_e32 v[4:5], v[20:21], v[22:23]
	s_wait_loadcnt 0x0
	v_mad_u16 v10, 0x55, v10, v11
	scratch_load_b128 v[11:14], off, off    ; 16-byte Folded Reload
	v_and_b32_e32 v10, 0xffff, v10
	s_delay_alu instid0(VALU_DEP_1)
	v_lshlrev_b32_e32 v10, 4, v10
	s_wait_loadcnt 0x0
	ds_store_b128 v10, v[11:14] offset:544
	scratch_load_b128 v[11:14], off, off offset:16 ; 16-byte Folded Reload
	s_wait_loadcnt 0x0
	ds_store_b128 v10, v[11:14] offset:816
	ds_store_b128 v10, v[6:9]
	ds_store_b128 v10, v[2:5] offset:272
	scratch_load_b128 v[2:5], off, off offset:32 ; 16-byte Folded Reload
	s_wait_loadcnt 0x0
	ds_store_b128 v10, v[2:5] offset:1088
.LBB0_5:
	s_wait_alu 0xfffe
	s_or_b32 exec_lo, exec_lo, s12
	v_lshlrev_b32_e32 v36, 8, v63
	global_wb scope:SCOPE_SE
	s_wait_storecnt_dscnt 0x0
	s_barrier_signal -1
	s_barrier_wait -1
	global_inv scope:SCOPE_SE
	ds_load_b128 v[212:215], v62
	ds_load_b128 v[2:5], v62 offset:1360
	ds_load_b128 v[6:9], v62 offset:2720
	;; [unrolled: 1-line block ×16, first 2 shown]
	scratch_store_b32 off, v63, off offset:120 ; 4-byte Folded Spill
	s_clause 0xb
	global_load_b128 v[84:87], v36, s[10:11] offset:1136
	global_load_b128 v[92:95], v36, s[10:11] offset:1120
	;; [unrolled: 1-line block ×12, first 2 shown]
	s_mov_b32 s22, 0x6c9a05f6
	s_mov_b32 s23, 0xbfe9895b
	s_add_nc_u64 s[56:57], s[8:9], 0x5a50
	s_mov_b32 s28, 0x5d8e7cdc
	s_mov_b32 s20, 0x2a9d6da3
	;; [unrolled: 1-line block ×29, first 2 shown]
	s_wait_alu 0xfffe
	s_mov_b32 s42, s36
	s_mov_b32 s31, 0x3feec746
	;; [unrolled: 1-line block ×12, first 2 shown]
	s_wait_loadcnt_dscnt 0x205
	v_mul_f64_e32 v[26:27], v[58:59], v[98:99]
	v_mul_f64_e32 v[22:23], v[4:5], v[134:135]
	s_delay_alu instid0(VALU_DEP_2) | instskip(NEXT) | instid1(VALU_DEP_2)
	v_fma_f64 v[216:217], v[60:61], v[96:97], v[26:27]
	v_fma_f64 v[244:245], v[2:3], v[132:133], -v[22:23]
	v_mul_f64_e32 v[2:3], v[2:3], v[134:135]
	s_wait_dscnt 0x4
	v_mul_f64_e32 v[26:27], v[110:111], v[90:91]
	v_mul_f64_e32 v[22:23], v[60:61], v[98:99]
	s_delay_alu instid0(VALU_DEP_3) | instskip(SKIP_1) | instid1(VALU_DEP_4)
	v_fma_f64 v[246:247], v[4:5], v[132:133], v[2:3]
	v_mul_f64_e32 v[2:3], v[8:9], v[102:103]
	v_fma_f64 v[220:221], v[108:109], v[88:89], -v[26:27]
	v_mul_f64_e32 v[26:27], v[108:109], v[90:91]
	s_wait_loadcnt 0x0
	v_mul_f64_e32 v[4:5], v[52:53], v[126:127]
	v_fma_f64 v[22:23], v[58:59], v[96:97], -v[22:23]
	v_fma_f64 v[230:231], v[6:7], v[100:101], -v[2:3]
	v_mul_f64_e32 v[2:3], v[6:7], v[102:103]
	v_fma_f64 v[26:27], v[110:111], v[88:89], v[26:27]
	s_clause 0x3
	global_load_b128 v[140:143], v36, s[10:11] offset:1328
	global_load_b128 v[136:139], v36, s[10:11] offset:1312
	;; [unrolled: 1-line block ×4, first 2 shown]
	s_mov_b32 s10, 0x923c349f
	s_mov_b32 s11, 0xbfeec746
	;; [unrolled: 1-line block ×3, first 2 shown]
	v_fma_f64 v[228:229], v[8:9], v[100:101], v[2:3]
	v_mul_f64_e32 v[2:3], v[12:13], v[94:95]
	v_fma_f64 v[8:9], v[50:51], v[124:125], -v[4:5]
	v_mul_f64_e32 v[4:5], v[50:51], v[126:127]
	s_delay_alu instid0(VALU_DEP_3) | instskip(SKIP_1) | instid1(VALU_DEP_3)
	v_fma_f64 v[34:35], v[10:11], v[92:93], -v[2:3]
	v_mul_f64_e32 v[2:3], v[10:11], v[94:95]
	v_fma_f64 v[4:5], v[52:53], v[124:125], v[4:5]
	s_delay_alu instid0(VALU_DEP_2) | instskip(SKIP_2) | instid1(VALU_DEP_2)
	v_fma_f64 v[28:29], v[12:13], v[92:93], v[2:3]
	v_mul_f64_e32 v[2:3], v[16:17], v[86:87]
	v_mul_f64_e32 v[12:13], v[56:57], v[118:119]
	v_fma_f64 v[224:225], v[14:15], v[84:85], -v[2:3]
	v_mul_f64_e32 v[2:3], v[14:15], v[86:87]
	s_delay_alu instid0(VALU_DEP_1) | instskip(SKIP_3) | instid1(VALU_DEP_3)
	v_fma_f64 v[222:223], v[16:17], v[84:85], v[2:3]
	v_mul_f64_e32 v[2:3], v[20:21], v[130:131]
	v_fma_f64 v[16:17], v[54:55], v[116:117], -v[12:13]
	v_mul_f64_e32 v[12:13], v[54:55], v[118:119]
	v_fma_f64 v[218:219], v[18:19], v[128:129], -v[2:3]
	v_mul_f64_e32 v[2:3], v[18:19], v[130:131]
	s_delay_alu instid0(VALU_DEP_3) | instskip(NEXT) | instid1(VALU_DEP_2)
	v_fma_f64 v[12:13], v[56:57], v[116:117], v[12:13]
	v_fma_f64 v[24:25], v[20:21], v[128:129], v[2:3]
	v_mul_f64_e32 v[2:3], v[32:33], v[122:123]
	s_delay_alu instid0(VALU_DEP_1) | instskip(SKIP_3) | instid1(VALU_DEP_2)
	v_fma_f64 v[20:21], v[30:31], v[120:121], -v[2:3]
	v_mul_f64_e32 v[2:3], v[30:31], v[122:123]
	s_wait_loadcnt_dscnt 0x3
	v_mul_f64_e32 v[30:31], v[234:235], v[146:147]
	v_fma_f64 v[18:19], v[32:33], v[120:121], v[2:3]
	v_mul_f64_e32 v[2:3], v[44:45], v[114:115]
	v_mul_f64_e32 v[32:33], v[232:233], v[146:147]
	s_delay_alu instid0(VALU_DEP_4) | instskip(NEXT) | instid1(VALU_DEP_3)
	v_fma_f64 v[30:31], v[232:233], v[144:145], -v[30:31]
	v_fma_f64 v[14:15], v[42:43], v[112:113], -v[2:3]
	v_mul_f64_e32 v[2:3], v[42:43], v[114:115]
	s_delay_alu instid0(VALU_DEP_4) | instskip(SKIP_4) | instid1(VALU_DEP_4)
	v_fma_f64 v[226:227], v[234:235], v[144:145], v[32:33]
	s_wait_dscnt 0x2
	v_mul_f64_e32 v[32:33], v[238:239], v[110:111]
	s_wait_dscnt 0x1
	v_mul_f64_e32 v[42:43], v[242:243], v[138:139]
	v_fma_f64 v[10:11], v[44:45], v[112:113], v[2:3]
	v_mul_f64_e32 v[2:3], v[48:49], v[106:107]
	s_delay_alu instid0(VALU_DEP_4)
	v_fma_f64 v[232:233], v[236:237], v[108:109], -v[32:33]
	v_mul_f64_e32 v[32:33], v[236:237], v[110:111]
	v_fma_f64 v[236:237], v[240:241], v[136:137], -v[42:43]
	v_mul_f64_e32 v[42:43], v[240:241], v[138:139]
	s_wait_dscnt 0x0
	v_mul_f64_e32 v[44:45], v[208:209], v[142:143]
	v_fma_f64 v[6:7], v[46:47], v[104:105], -v[2:3]
	v_mul_f64_e32 v[2:3], v[46:47], v[106:107]
	v_add_f64_e32 v[46:47], v[212:213], v[244:245]
	v_fma_f64 v[32:33], v[238:239], v[108:109], v[32:33]
	v_fma_f64 v[234:235], v[242:243], v[136:137], v[42:43]
	v_mul_f64_e32 v[42:43], v[210:211], v[142:143]
	v_fma_f64 v[44:45], v[210:211], v[140:141], v[44:45]
	v_add_f64_e64 v[74:75], v[230:231], -v[236:237]
	v_fma_f64 v[2:3], v[48:49], v[104:105], v[2:3]
	v_add_f64_e32 v[48:49], v[214:215], v[246:247]
	v_add_f64_e32 v[46:47], v[46:47], v[230:231]
	v_fma_f64 v[42:43], v[208:209], v[140:141], -v[42:43]
	s_delay_alu instid0(VALU_DEP_3) | instskip(NEXT) | instid1(VALU_DEP_3)
	v_add_f64_e32 v[48:49], v[48:49], v[228:229]
	v_add_f64_e32 v[46:47], v[46:47], v[34:35]
	s_delay_alu instid0(VALU_DEP_2) | instskip(NEXT) | instid1(VALU_DEP_2)
	v_add_f64_e32 v[48:49], v[48:49], v[28:29]
	v_add_f64_e32 v[46:47], v[46:47], v[224:225]
	s_delay_alu instid0(VALU_DEP_2) | instskip(NEXT) | instid1(VALU_DEP_2)
	;; [unrolled: 3-line block ×13, first 2 shown]
	v_add_f64_e32 v[48:49], v[48:49], v[234:235]
	v_add_f64_e32 v[46:47], v[46:47], v[42:43]
	s_delay_alu instid0(VALU_DEP_2)
	v_add_f64_e32 v[48:49], v[48:49], v[44:45]
	scratch_store_b128 off, v[46:49], off offset:356 ; 16-byte Folded Spill
	v_add_f64_e32 v[48:49], v[246:247], v[44:45]
	v_add_f64_e64 v[44:45], v[246:247], -v[44:45]
	v_add_f64_e32 v[46:47], v[244:245], v[42:43]
	v_add_f64_e64 v[42:43], v[244:245], -v[42:43]
	s_delay_alu instid0(VALU_DEP_3)
	v_mul_f64_e32 v[210:211], s[22:23], v[44:45]
	v_mul_f64_e32 v[50:51], s[28:29], v[44:45]
	;; [unrolled: 1-line block ×14, first 2 shown]
	v_fma_f64 v[196:197], v[46:47], s[24:25], -v[210:211]
	v_fma_f64 v[202:203], v[46:47], s[24:25], v[210:211]
	v_mul_f64_e32 v[210:211], s[36:37], v[44:45]
	v_mul_f64_e32 v[44:45], s[40:41], v[44:45]
	v_fma_f64 v[52:53], v[46:47], s[26:27], -v[50:51]
	v_fma_f64 v[50:51], v[46:47], s[26:27], v[50:51]
	v_fma_f64 v[60:61], v[46:47], s[18:19], -v[58:59]
	v_fma_f64 v[58:59], v[46:47], s[18:19], v[58:59]
	;; [unrolled: 2-line block ×5, first 2 shown]
	v_fma_f64 v[56:57], v[48:49], s[26:27], v[54:55]
	v_fma_f64 v[54:55], v[48:49], s[26:27], -v[54:55]
	v_fma_f64 v[240:241], v[48:49], s[18:19], v[238:239]
	v_fma_f64 v[238:239], v[48:49], s[18:19], -v[238:239]
	v_fma_f64 v[248:249], v[48:49], s[14:15], v[246:247]
	v_fma_f64 v[246:247], v[48:49], s[14:15], -v[246:247]
	v_fma_f64 v[36:37], v[48:49], s[2:3], v[254:255]
	v_fma_f64 v[254:255], v[48:49], s[2:3], -v[254:255]
	v_fma_f64 v[208:209], v[48:49], s[12:13], v[39:40]
	v_fma_f64 v[39:40], v[48:49], s[12:13], -v[39:40]
	v_fma_f64 v[200:201], v[48:49], s[24:25], v[198:199]
	v_fma_f64 v[198:199], v[48:49], s[24:25], -v[198:199]
	v_fma_f64 v[68:69], v[48:49], s[38:39], v[206:207]
	v_fma_f64 v[206:207], v[48:49], s[38:39], -v[206:207]
	v_fma_f64 v[72:73], v[48:49], s[44:45], v[42:43]
	v_fma_f64 v[42:43], v[48:49], s[44:45], -v[42:43]
	v_add_f64_e32 v[48:49], v[228:229], v[234:235]
	v_add_f64_e32 v[196:197], v[212:213], v[196:197]
	;; [unrolled: 1-line block ×3, first 2 shown]
	v_fma_f64 v[204:205], v[46:47], s[38:39], -v[210:211]
	v_fma_f64 v[70:71], v[46:47], s[38:39], v[210:211]
	v_fma_f64 v[210:211], v[46:47], s[44:45], -v[44:45]
	v_fma_f64 v[44:45], v[46:47], s[44:45], v[44:45]
	v_add_f64_e32 v[52:53], v[212:213], v[52:53]
	v_add_f64_e32 v[50:51], v[212:213], v[50:51]
	;; [unrolled: 1-line block ×27, first 2 shown]
	v_mul_f64_e32 v[236:237], s[22:23], v[74:75]
	v_add_f64_e32 v[204:205], v[212:213], v[204:205]
	v_add_f64_e32 v[70:71], v[212:213], v[70:71]
	;; [unrolled: 1-line block ×4, first 2 shown]
	v_add_f64_e64 v[212:213], v[228:229], -v[234:235]
	s_delay_alu instid0(VALU_DEP_1) | instskip(NEXT) | instid1(VALU_DEP_1)
	v_mul_f64_e32 v[214:215], s[20:21], v[212:213]
	v_fma_f64 v[228:229], v[46:47], s[18:19], -v[214:215]
	v_fma_f64 v[214:215], v[46:47], s[18:19], v[214:215]
	s_delay_alu instid0(VALU_DEP_2) | instskip(SKIP_1) | instid1(VALU_DEP_3)
	v_add_f64_e32 v[52:53], v[228:229], v[52:53]
	v_mul_f64_e32 v[228:229], s[20:21], v[74:75]
	v_add_f64_e32 v[50:51], v[214:215], v[50:51]
	s_delay_alu instid0(VALU_DEP_2) | instskip(SKIP_1) | instid1(VALU_DEP_2)
	v_fma_f64 v[214:215], v[48:49], s[18:19], -v[228:229]
	v_fma_f64 v[230:231], v[48:49], s[18:19], v[228:229]
	v_add_f64_e32 v[54:55], v[214:215], v[54:55]
	v_mul_f64_e32 v[214:215], s[8:9], v[212:213]
	s_delay_alu instid0(VALU_DEP_3) | instskip(NEXT) | instid1(VALU_DEP_2)
	v_add_f64_e32 v[56:57], v[230:231], v[56:57]
	v_fma_f64 v[228:229], v[46:47], s[2:3], -v[214:215]
	v_fma_f64 v[214:215], v[46:47], s[2:3], v[214:215]
	s_delay_alu instid0(VALU_DEP_2) | instskip(SKIP_1) | instid1(VALU_DEP_3)
	v_add_f64_e32 v[60:61], v[228:229], v[60:61]
	v_mul_f64_e32 v[228:229], s[8:9], v[74:75]
	v_add_f64_e32 v[58:59], v[214:215], v[58:59]
	s_delay_alu instid0(VALU_DEP_2) | instskip(SKIP_2) | instid1(VALU_DEP_3)
	v_fma_f64 v[230:231], v[48:49], s[2:3], v[228:229]
	v_fma_f64 v[214:215], v[48:49], s[2:3], -v[228:229]
	v_mul_f64_e32 v[228:229], s[22:23], v[212:213]
	v_add_f64_e32 v[230:231], v[230:231], v[240:241]
	s_delay_alu instid0(VALU_DEP_3) | instskip(NEXT) | instid1(VALU_DEP_3)
	v_add_f64_e32 v[214:215], v[214:215], v[238:239]
	v_fma_f64 v[234:235], v[46:47], s[24:25], -v[228:229]
	v_fma_f64 v[238:239], v[48:49], s[24:25], v[236:237]
	v_fma_f64 v[236:237], v[48:49], s[24:25], -v[236:237]
	v_fma_f64 v[228:229], v[46:47], s[24:25], v[228:229]
	v_mul_f64_e32 v[240:241], s[40:41], v[212:213]
	v_add_f64_e32 v[234:235], v[234:235], v[244:245]
	v_mul_f64_e32 v[244:245], s[40:41], v[74:75]
	v_add_f64_e32 v[236:237], v[236:237], v[246:247]
	v_add_f64_e32 v[238:239], v[238:239], v[248:249]
	;; [unrolled: 1-line block ×3, first 2 shown]
	v_fma_f64 v[242:243], v[46:47], s[44:45], -v[240:241]
	v_fma_f64 v[240:241], v[46:47], s[44:45], v[240:241]
	v_fma_f64 v[246:247], v[48:49], s[44:45], v[244:245]
	v_fma_f64 v[244:245], v[48:49], s[44:45], -v[244:245]
	s_delay_alu instid0(VALU_DEP_4) | instskip(NEXT) | instid1(VALU_DEP_4)
	v_add_f64_e32 v[242:243], v[242:243], v[252:253]
	v_add_f64_e32 v[240:241], v[240:241], v[250:251]
	s_delay_alu instid0(VALU_DEP_4)
	v_add_f64_e32 v[36:37], v[246:247], v[36:37]
	s_wait_alu 0xfffe
	v_mul_f64_e32 v[246:247], s[42:43], v[212:213]
	v_add_f64_e32 v[244:245], v[244:245], v[254:255]
	v_add_f64_e32 v[254:255], v[10:11], v[12:13]
	v_add_f64_e64 v[10:11], v[10:11], -v[12:13]
	s_delay_alu instid0(VALU_DEP_4) | instskip(SKIP_1) | instid1(VALU_DEP_3)
	v_fma_f64 v[248:249], v[46:47], s[38:39], -v[246:247]
	v_fma_f64 v[246:247], v[46:47], s[38:39], v[246:247]
	v_mul_f64_e32 v[12:13], s[36:37], v[10:11]
	s_delay_alu instid0(VALU_DEP_3) | instskip(SKIP_1) | instid1(VALU_DEP_4)
	v_add_f64_e32 v[66:67], v[248:249], v[66:67]
	v_mul_f64_e32 v[248:249], s[42:43], v[74:75]
	v_add_f64_e32 v[63:64], v[246:247], v[63:64]
	s_delay_alu instid0(VALU_DEP_2) | instskip(SKIP_1) | instid1(VALU_DEP_2)
	v_fma_f64 v[246:247], v[48:49], s[38:39], -v[248:249]
	v_fma_f64 v[250:251], v[48:49], s[38:39], v[248:249]
	v_add_f64_e32 v[39:40], v[246:247], v[39:40]
	v_mul_f64_e32 v[246:247], s[30:31], v[212:213]
	s_delay_alu instid0(VALU_DEP_3) | instskip(NEXT) | instid1(VALU_DEP_2)
	v_add_f64_e32 v[208:209], v[250:251], v[208:209]
	v_fma_f64 v[248:249], v[46:47], s[12:13], -v[246:247]
	v_fma_f64 v[246:247], v[46:47], s[12:13], v[246:247]
	s_delay_alu instid0(VALU_DEP_2) | instskip(SKIP_1) | instid1(VALU_DEP_3)
	v_add_f64_e32 v[196:197], v[248:249], v[196:197]
	v_mul_f64_e32 v[248:249], s[30:31], v[74:75]
	v_add_f64_e32 v[202:203], v[246:247], v[202:203]
	s_delay_alu instid0(VALU_DEP_2) | instskip(SKIP_1) | instid1(VALU_DEP_2)
	v_fma_f64 v[246:247], v[48:49], s[12:13], -v[248:249]
	v_fma_f64 v[250:251], v[48:49], s[12:13], v[248:249]
	v_add_f64_e32 v[198:199], v[246:247], v[198:199]
	v_mul_f64_e32 v[246:247], s[34:35], v[212:213]
	v_mul_f64_e32 v[212:213], s[46:47], v[212:213]
	s_delay_alu instid0(VALU_DEP_4) | instskip(NEXT) | instid1(VALU_DEP_3)
	v_add_f64_e32 v[200:201], v[250:251], v[200:201]
	v_fma_f64 v[248:249], v[46:47], s[14:15], -v[246:247]
	v_fma_f64 v[246:247], v[46:47], s[14:15], v[246:247]
	s_delay_alu instid0(VALU_DEP_2) | instskip(SKIP_1) | instid1(VALU_DEP_3)
	v_add_f64_e32 v[204:205], v[248:249], v[204:205]
	v_mul_f64_e32 v[248:249], s[34:35], v[74:75]
	v_add_f64_e32 v[70:71], v[246:247], v[70:71]
	v_mul_f64_e32 v[74:75], s[46:47], v[74:75]
	s_delay_alu instid0(VALU_DEP_3) | instskip(SKIP_1) | instid1(VALU_DEP_2)
	v_fma_f64 v[246:247], v[48:49], s[14:15], -v[248:249]
	v_fma_f64 v[250:251], v[48:49], s[14:15], v[248:249]
	v_add_f64_e32 v[206:207], v[246:247], v[206:207]
	v_fma_f64 v[246:247], v[46:47], s[26:27], -v[212:213]
	v_fma_f64 v[46:47], v[46:47], s[26:27], v[212:213]
	s_delay_alu instid0(VALU_DEP_4) | instskip(NEXT) | instid1(VALU_DEP_3)
	v_add_f64_e32 v[68:69], v[250:251], v[68:69]
	v_add_f64_e32 v[210:211], v[246:247], v[210:211]
	v_fma_f64 v[246:247], v[48:49], s[26:27], v[74:75]
	s_delay_alu instid0(VALU_DEP_4) | instskip(SKIP_4) | instid1(VALU_DEP_4)
	v_add_f64_e32 v[44:45], v[46:47], v[44:45]
	v_fma_f64 v[46:47], v[48:49], s[26:27], -v[74:75]
	v_add_f64_e32 v[48:49], v[28:29], v[32:33]
	v_add_f64_e64 v[28:29], v[28:29], -v[32:33]
	v_add_f64_e32 v[72:73], v[246:247], v[72:73]
	v_add_f64_e32 v[42:43], v[46:47], v[42:43]
	;; [unrolled: 1-line block ×3, first 2 shown]
	s_delay_alu instid0(VALU_DEP_4) | instskip(SKIP_1) | instid1(VALU_DEP_2)
	v_mul_f64_e32 v[32:33], s[16:17], v[28:29]
	v_add_f64_e64 v[34:35], v[34:35], -v[232:233]
	v_fma_f64 v[74:75], v[46:47], s[14:15], -v[32:33]
	v_fma_f64 v[32:33], v[46:47], s[14:15], v[32:33]
	s_delay_alu instid0(VALU_DEP_2) | instskip(NEXT) | instid1(VALU_DEP_4)
	v_add_f64_e32 v[52:53], v[74:75], v[52:53]
	v_mul_f64_e32 v[74:75], s[16:17], v[34:35]
	s_delay_alu instid0(VALU_DEP_3) | instskip(NEXT) | instid1(VALU_DEP_2)
	v_add_f64_e32 v[32:33], v[32:33], v[50:51]
	v_fma_f64 v[50:51], v[48:49], s[14:15], -v[74:75]
	v_fma_f64 v[212:213], v[48:49], s[14:15], v[74:75]
	s_delay_alu instid0(VALU_DEP_2) | instskip(SKIP_1) | instid1(VALU_DEP_3)
	v_add_f64_e32 v[50:51], v[50:51], v[54:55]
	v_mul_f64_e32 v[54:55], s[22:23], v[28:29]
	v_add_f64_e32 v[56:57], v[212:213], v[56:57]
	s_delay_alu instid0(VALU_DEP_2) | instskip(SKIP_1) | instid1(VALU_DEP_2)
	v_fma_f64 v[74:75], v[46:47], s[24:25], -v[54:55]
	v_fma_f64 v[54:55], v[46:47], s[24:25], v[54:55]
	v_add_f64_e32 v[60:61], v[74:75], v[60:61]
	v_mul_f64_e32 v[74:75], s[22:23], v[34:35]
	s_delay_alu instid0(VALU_DEP_3) | instskip(NEXT) | instid1(VALU_DEP_2)
	v_add_f64_e32 v[54:55], v[54:55], v[58:59]
	v_fma_f64 v[212:213], v[48:49], s[24:25], v[74:75]
	v_fma_f64 v[58:59], v[48:49], s[24:25], -v[74:75]
	v_mul_f64_e32 v[74:75], s[52:53], v[28:29]
	s_delay_alu instid0(VALU_DEP_3) | instskip(NEXT) | instid1(VALU_DEP_3)
	v_add_f64_e32 v[212:213], v[212:213], v[230:231]
	v_add_f64_e32 v[58:59], v[58:59], v[214:215]
	s_delay_alu instid0(VALU_DEP_3) | instskip(SKIP_2) | instid1(VALU_DEP_3)
	v_fma_f64 v[214:215], v[46:47], s[44:45], -v[74:75]
	v_mul_f64_e32 v[230:231], s[52:53], v[34:35]
	v_fma_f64 v[74:75], v[46:47], s[44:45], v[74:75]
	v_add_f64_e32 v[214:215], v[214:215], v[234:235]
	s_delay_alu instid0(VALU_DEP_3) | instskip(NEXT) | instid1(VALU_DEP_3)
	v_fma_f64 v[232:233], v[48:49], s[44:45], v[230:231]
	v_add_f64_e32 v[74:75], v[74:75], v[228:229]
	v_fma_f64 v[228:229], v[48:49], s[44:45], -v[230:231]
	v_mul_f64_e32 v[230:231], s[30:31], v[28:29]
	s_delay_alu instid0(VALU_DEP_4) | instskip(NEXT) | instid1(VALU_DEP_3)
	v_add_f64_e32 v[232:233], v[232:233], v[238:239]
	v_add_f64_e32 v[228:229], v[228:229], v[236:237]
	v_mul_f64_e32 v[236:237], s[30:31], v[34:35]
	s_delay_alu instid0(VALU_DEP_4) | instskip(SKIP_1) | instid1(VALU_DEP_3)
	v_fma_f64 v[234:235], v[46:47], s[12:13], -v[230:231]
	v_fma_f64 v[230:231], v[46:47], s[12:13], v[230:231]
	v_fma_f64 v[238:239], v[48:49], s[12:13], v[236:237]
	s_delay_alu instid0(VALU_DEP_3) | instskip(NEXT) | instid1(VALU_DEP_3)
	v_add_f64_e32 v[234:235], v[234:235], v[242:243]
	v_add_f64_e32 v[230:231], v[230:231], v[240:241]
	v_fma_f64 v[236:237], v[48:49], s[12:13], -v[236:237]
	s_delay_alu instid0(VALU_DEP_4) | instskip(SKIP_1) | instid1(VALU_DEP_3)
	v_add_f64_e32 v[36:37], v[238:239], v[36:37]
	v_mul_f64_e32 v[238:239], s[48:49], v[28:29]
	v_add_f64_e32 v[236:237], v[236:237], v[244:245]
	s_delay_alu instid0(VALU_DEP_2) | instskip(SKIP_1) | instid1(VALU_DEP_2)
	v_fma_f64 v[240:241], v[46:47], s[18:19], -v[238:239]
	v_fma_f64 v[238:239], v[46:47], s[18:19], v[238:239]
	v_add_f64_e32 v[66:67], v[240:241], v[66:67]
	v_mul_f64_e32 v[240:241], s[48:49], v[34:35]
	s_delay_alu instid0(VALU_DEP_3) | instskip(NEXT) | instid1(VALU_DEP_2)
	v_add_f64_e32 v[63:64], v[238:239], v[63:64]
	v_fma_f64 v[238:239], v[48:49], s[18:19], -v[240:241]
	v_fma_f64 v[242:243], v[48:49], s[18:19], v[240:241]
	s_delay_alu instid0(VALU_DEP_2) | instskip(SKIP_1) | instid1(VALU_DEP_3)
	v_add_f64_e32 v[39:40], v[238:239], v[39:40]
	v_mul_f64_e32 v[238:239], s[28:29], v[28:29]
	v_add_f64_e32 v[208:209], v[242:243], v[208:209]
	s_delay_alu instid0(VALU_DEP_2) | instskip(SKIP_1) | instid1(VALU_DEP_2)
	v_fma_f64 v[240:241], v[46:47], s[26:27], -v[238:239]
	v_fma_f64 v[238:239], v[46:47], s[26:27], v[238:239]
	v_add_f64_e32 v[196:197], v[240:241], v[196:197]
	v_mul_f64_e32 v[240:241], s[28:29], v[34:35]
	s_delay_alu instid0(VALU_DEP_3) | instskip(NEXT) | instid1(VALU_DEP_2)
	v_add_f64_e32 v[202:203], v[238:239], v[202:203]
	v_fma_f64 v[238:239], v[48:49], s[26:27], -v[240:241]
	v_fma_f64 v[242:243], v[48:49], s[26:27], v[240:241]
	s_delay_alu instid0(VALU_DEP_2) | instskip(SKIP_2) | instid1(VALU_DEP_4)
	v_add_f64_e32 v[198:199], v[238:239], v[198:199]
	v_mul_f64_e32 v[238:239], s[8:9], v[28:29]
	v_mul_f64_e32 v[28:29], s[36:37], v[28:29]
	v_add_f64_e32 v[200:201], v[242:243], v[200:201]
	s_delay_alu instid0(VALU_DEP_3) | instskip(SKIP_1) | instid1(VALU_DEP_2)
	v_fma_f64 v[240:241], v[46:47], s[2:3], -v[238:239]
	v_fma_f64 v[238:239], v[46:47], s[2:3], v[238:239]
	v_add_f64_e32 v[204:205], v[240:241], v[204:205]
	v_mul_f64_e32 v[240:241], s[8:9], v[34:35]
	s_delay_alu instid0(VALU_DEP_3) | instskip(SKIP_1) | instid1(VALU_DEP_3)
	v_add_f64_e32 v[70:71], v[238:239], v[70:71]
	v_mul_f64_e32 v[34:35], s[36:37], v[34:35]
	v_fma_f64 v[238:239], v[48:49], s[2:3], -v[240:241]
	v_fma_f64 v[242:243], v[48:49], s[2:3], v[240:241]
	s_delay_alu instid0(VALU_DEP_2) | instskip(SKIP_4) | instid1(VALU_DEP_4)
	v_add_f64_e32 v[206:207], v[238:239], v[206:207]
	v_fma_f64 v[238:239], v[46:47], s[38:39], -v[28:29]
	v_fma_f64 v[28:29], v[46:47], s[38:39], v[28:29]
	v_add_f64_e64 v[46:47], v[222:223], -v[226:227]
	v_add_f64_e32 v[68:69], v[242:243], v[68:69]
	v_add_f64_e32 v[210:211], v[238:239], v[210:211]
	v_fma_f64 v[238:239], v[48:49], s[38:39], v[34:35]
	v_fma_f64 v[34:35], v[48:49], s[38:39], -v[34:35]
	v_mul_f64_e32 v[48:49], s[8:9], v[46:47]
	v_add_f64_e32 v[28:29], v[28:29], v[44:45]
	v_add_f64_e32 v[44:45], v[222:223], v[226:227]
	;; [unrolled: 1-line block ×5, first 2 shown]
	v_add_f64_e64 v[30:31], v[224:225], -v[30:31]
	s_delay_alu instid0(VALU_DEP_2) | instskip(SKIP_1) | instid1(VALU_DEP_2)
	v_fma_f64 v[222:223], v[42:43], s[2:3], -v[48:49]
	v_fma_f64 v[48:49], v[42:43], s[2:3], v[48:49]
	v_add_f64_e32 v[52:53], v[222:223], v[52:53]
	s_delay_alu instid0(VALU_DEP_4) | instskip(NEXT) | instid1(VALU_DEP_3)
	v_mul_f64_e32 v[222:223], s[8:9], v[30:31]
	v_add_f64_e32 v[32:33], v[48:49], v[32:33]
	s_delay_alu instid0(VALU_DEP_2) | instskip(SKIP_1) | instid1(VALU_DEP_2)
	v_fma_f64 v[48:49], v[44:45], s[2:3], -v[222:223]
	v_fma_f64 v[224:225], v[44:45], s[2:3], v[222:223]
	v_add_f64_e32 v[48:49], v[48:49], v[50:51]
	v_mul_f64_e32 v[50:51], s[40:41], v[46:47]
	s_delay_alu instid0(VALU_DEP_3) | instskip(NEXT) | instid1(VALU_DEP_2)
	v_add_f64_e32 v[56:57], v[224:225], v[56:57]
	v_fma_f64 v[222:223], v[42:43], s[44:45], -v[50:51]
	v_fma_f64 v[50:51], v[42:43], s[44:45], v[50:51]
	s_delay_alu instid0(VALU_DEP_2) | instskip(SKIP_1) | instid1(VALU_DEP_3)
	v_add_f64_e32 v[60:61], v[222:223], v[60:61]
	v_mul_f64_e32 v[222:223], s[40:41], v[30:31]
	v_add_f64_e32 v[50:51], v[50:51], v[54:55]
	s_delay_alu instid0(VALU_DEP_2) | instskip(SKIP_1) | instid1(VALU_DEP_2)
	v_fma_f64 v[54:55], v[44:45], s[44:45], -v[222:223]
	v_fma_f64 v[224:225], v[44:45], s[44:45], v[222:223]
	v_add_f64_e32 v[54:55], v[54:55], v[58:59]
	v_mul_f64_e32 v[58:59], s[30:31], v[46:47]
	s_delay_alu instid0(VALU_DEP_3) | instskip(NEXT) | instid1(VALU_DEP_2)
	v_add_f64_e32 v[212:213], v[224:225], v[212:213]
	v_fma_f64 v[222:223], v[42:43], s[12:13], -v[58:59]
	v_fma_f64 v[58:59], v[42:43], s[12:13], v[58:59]
	s_delay_alu instid0(VALU_DEP_2) | instskip(SKIP_1) | instid1(VALU_DEP_3)
	v_add_f64_e32 v[214:215], v[222:223], v[214:215]
	v_mul_f64_e32 v[222:223], s[30:31], v[30:31]
	v_add_f64_e32 v[58:59], v[58:59], v[74:75]
	s_delay_alu instid0(VALU_DEP_2) | instskip(SKIP_2) | instid1(VALU_DEP_3)
	v_fma_f64 v[224:225], v[44:45], s[12:13], v[222:223]
	v_fma_f64 v[74:75], v[44:45], s[12:13], -v[222:223]
	v_mul_f64_e32 v[222:223], s[46:47], v[46:47]
	v_add_f64_e32 v[224:225], v[224:225], v[232:233]
	s_delay_alu instid0(VALU_DEP_3) | instskip(NEXT) | instid1(VALU_DEP_3)
	v_add_f64_e32 v[74:75], v[74:75], v[228:229]
	v_fma_f64 v[226:227], v[42:43], s[26:27], -v[222:223]
	v_mul_f64_e32 v[228:229], s[46:47], v[30:31]
	v_fma_f64 v[222:223], v[42:43], s[26:27], v[222:223]
	s_delay_alu instid0(VALU_DEP_3) | instskip(NEXT) | instid1(VALU_DEP_3)
	v_add_f64_e32 v[226:227], v[226:227], v[234:235]
	v_fma_f64 v[232:233], v[44:45], s[26:27], v[228:229]
	s_delay_alu instid0(VALU_DEP_3) | instskip(SKIP_2) | instid1(VALU_DEP_4)
	v_add_f64_e32 v[222:223], v[222:223], v[230:231]
	v_mul_f64_e32 v[230:231], s[16:17], v[46:47]
	v_fma_f64 v[228:229], v[44:45], s[26:27], -v[228:229]
	v_add_f64_e32 v[36:37], v[232:233], v[36:37]
	s_delay_alu instid0(VALU_DEP_3) | instskip(SKIP_1) | instid1(VALU_DEP_4)
	v_fma_f64 v[232:233], v[42:43], s[14:15], -v[230:231]
	v_fma_f64 v[230:231], v[42:43], s[14:15], v[230:231]
	v_add_f64_e32 v[228:229], v[228:229], v[236:237]
	s_delay_alu instid0(VALU_DEP_3) | instskip(SKIP_1) | instid1(VALU_DEP_4)
	v_add_f64_e32 v[66:67], v[232:233], v[66:67]
	v_mul_f64_e32 v[232:233], s[16:17], v[30:31]
	v_add_f64_e32 v[63:64], v[230:231], v[63:64]
	s_delay_alu instid0(VALU_DEP_2) | instskip(SKIP_1) | instid1(VALU_DEP_2)
	v_fma_f64 v[230:231], v[44:45], s[14:15], -v[232:233]
	v_fma_f64 v[234:235], v[44:45], s[14:15], v[232:233]
	v_add_f64_e32 v[39:40], v[230:231], v[39:40]
	v_mul_f64_e32 v[230:231], s[36:37], v[46:47]
	s_delay_alu instid0(VALU_DEP_3) | instskip(NEXT) | instid1(VALU_DEP_2)
	v_add_f64_e32 v[208:209], v[234:235], v[208:209]
	v_fma_f64 v[232:233], v[42:43], s[38:39], -v[230:231]
	v_fma_f64 v[230:231], v[42:43], s[38:39], v[230:231]
	s_delay_alu instid0(VALU_DEP_2) | instskip(SKIP_1) | instid1(VALU_DEP_3)
	v_add_f64_e32 v[196:197], v[232:233], v[196:197]
	v_mul_f64_e32 v[232:233], s[36:37], v[30:31]
	v_add_f64_e32 v[202:203], v[230:231], v[202:203]
	s_delay_alu instid0(VALU_DEP_2) | instskip(SKIP_1) | instid1(VALU_DEP_2)
	v_fma_f64 v[230:231], v[44:45], s[38:39], -v[232:233]
	v_fma_f64 v[234:235], v[44:45], s[38:39], v[232:233]
	v_add_f64_e32 v[198:199], v[230:231], v[198:199]
	v_mul_f64_e32 v[230:231], s[54:55], v[46:47]
	v_mul_f64_e32 v[46:47], s[48:49], v[46:47]
	s_delay_alu instid0(VALU_DEP_4) | instskip(NEXT) | instid1(VALU_DEP_3)
	v_add_f64_e32 v[200:201], v[234:235], v[200:201]
	v_fma_f64 v[232:233], v[42:43], s[24:25], -v[230:231]
	v_fma_f64 v[230:231], v[42:43], s[24:25], v[230:231]
	s_delay_alu instid0(VALU_DEP_2) | instskip(SKIP_1) | instid1(VALU_DEP_3)
	v_add_f64_e32 v[204:205], v[232:233], v[204:205]
	v_mul_f64_e32 v[232:233], s[54:55], v[30:31]
	v_add_f64_e32 v[70:71], v[230:231], v[70:71]
	v_mul_f64_e32 v[30:31], s[48:49], v[30:31]
	s_delay_alu instid0(VALU_DEP_3) | instskip(SKIP_1) | instid1(VALU_DEP_2)
	v_fma_f64 v[230:231], v[44:45], s[24:25], -v[232:233]
	v_fma_f64 v[234:235], v[44:45], s[24:25], v[232:233]
	v_add_f64_e32 v[206:207], v[230:231], v[206:207]
	v_fma_f64 v[230:231], v[42:43], s[18:19], -v[46:47]
	v_fma_f64 v[42:43], v[42:43], s[18:19], v[46:47]
	s_delay_alu instid0(VALU_DEP_4) | instskip(NEXT) | instid1(VALU_DEP_3)
	v_add_f64_e32 v[68:69], v[234:235], v[68:69]
	v_add_f64_e32 v[210:211], v[230:231], v[210:211]
	v_fma_f64 v[230:231], v[44:45], s[18:19], v[30:31]
	s_delay_alu instid0(VALU_DEP_4)
	v_add_f64_e32 v[28:29], v[42:43], v[28:29]
	v_fma_f64 v[30:31], v[44:45], s[18:19], -v[30:31]
	v_add_f64_e32 v[42:43], v[24:25], v[26:27]
	v_add_f64_e64 v[24:25], v[24:25], -v[26:27]
	v_add_f64_e64 v[44:45], v[218:219], -v[220:221]
	v_add_f64_e32 v[72:73], v[230:231], v[72:73]
	v_add_f64_e32 v[30:31], v[30:31], v[34:35]
	;; [unrolled: 1-line block ×3, first 2 shown]
	v_mul_f64_e32 v[26:27], s[10:11], v[24:25]
	v_mul_f64_e32 v[220:221], s[16:17], v[44:45]
	s_delay_alu instid0(VALU_DEP_2) | instskip(SKIP_1) | instid1(VALU_DEP_2)
	v_fma_f64 v[46:47], v[34:35], s[12:13], -v[26:27]
	v_fma_f64 v[26:27], v[34:35], s[12:13], v[26:27]
	v_add_f64_e32 v[46:47], v[46:47], v[52:53]
	v_mul_f64_e32 v[52:53], s[10:11], v[44:45]
	s_delay_alu instid0(VALU_DEP_3) | instskip(NEXT) | instid1(VALU_DEP_2)
	v_add_f64_e32 v[26:27], v[26:27], v[32:33]
	v_fma_f64 v[32:33], v[42:43], s[12:13], -v[52:53]
	v_fma_f64 v[218:219], v[42:43], s[12:13], v[52:53]
	s_delay_alu instid0(VALU_DEP_2) | instskip(SKIP_1) | instid1(VALU_DEP_3)
	v_add_f64_e32 v[32:33], v[32:33], v[48:49]
	v_mul_f64_e32 v[48:49], s[42:43], v[24:25]
	v_add_f64_e32 v[56:57], v[218:219], v[56:57]
	s_delay_alu instid0(VALU_DEP_2) | instskip(SKIP_1) | instid1(VALU_DEP_2)
	v_fma_f64 v[52:53], v[34:35], s[38:39], -v[48:49]
	v_fma_f64 v[48:49], v[34:35], s[38:39], v[48:49]
	v_add_f64_e32 v[52:53], v[52:53], v[60:61]
	v_mul_f64_e32 v[60:61], s[42:43], v[44:45]
	s_delay_alu instid0(VALU_DEP_3) | instskip(NEXT) | instid1(VALU_DEP_2)
	v_add_f64_e32 v[48:49], v[48:49], v[50:51]
	v_fma_f64 v[50:51], v[42:43], s[38:39], -v[60:61]
	v_fma_f64 v[218:219], v[42:43], s[38:39], v[60:61]
	s_delay_alu instid0(VALU_DEP_2) | instskip(SKIP_1) | instid1(VALU_DEP_3)
	v_add_f64_e32 v[50:51], v[50:51], v[54:55]
	v_mul_f64_e32 v[54:55], s[48:49], v[24:25]
	v_add_f64_e32 v[212:213], v[218:219], v[212:213]
	;; [unrolled: 13-line block ×3, first 2 shown]
	v_fma_f64 v[224:225], v[42:43], s[14:15], v[220:221]
	v_fma_f64 v[220:221], v[42:43], s[14:15], -v[220:221]
	s_delay_alu instid0(VALU_DEP_4) | instskip(SKIP_1) | instid1(VALU_DEP_4)
	v_fma_f64 v[214:215], v[34:35], s[14:15], -v[74:75]
	v_fma_f64 v[74:75], v[34:35], s[14:15], v[74:75]
	v_add_f64_e32 v[36:37], v[224:225], v[36:37]
	s_delay_alu instid0(VALU_DEP_4) | instskip(NEXT) | instid1(VALU_DEP_4)
	v_add_f64_e32 v[220:221], v[220:221], v[228:229]
	v_add_f64_e32 v[214:215], v[214:215], v[226:227]
	s_delay_alu instid0(VALU_DEP_4) | instskip(SKIP_1) | instid1(VALU_DEP_1)
	v_add_f64_e32 v[74:75], v[74:75], v[222:223]
	v_mul_f64_e32 v[222:223], s[40:41], v[24:25]
	v_fma_f64 v[224:225], v[34:35], s[44:45], -v[222:223]
	v_fma_f64 v[222:223], v[34:35], s[44:45], v[222:223]
	s_delay_alu instid0(VALU_DEP_2) | instskip(SKIP_1) | instid1(VALU_DEP_3)
	v_add_f64_e32 v[66:67], v[224:225], v[66:67]
	v_mul_f64_e32 v[224:225], s[40:41], v[44:45]
	v_add_f64_e32 v[63:64], v[222:223], v[63:64]
	s_delay_alu instid0(VALU_DEP_2) | instskip(SKIP_1) | instid1(VALU_DEP_2)
	v_fma_f64 v[222:223], v[42:43], s[44:45], -v[224:225]
	v_fma_f64 v[226:227], v[42:43], s[44:45], v[224:225]
	v_add_f64_e32 v[39:40], v[222:223], v[39:40]
	v_mul_f64_e32 v[222:223], s[50:51], v[24:25]
	s_delay_alu instid0(VALU_DEP_3) | instskip(NEXT) | instid1(VALU_DEP_2)
	v_add_f64_e32 v[208:209], v[226:227], v[208:209]
	v_fma_f64 v[224:225], v[34:35], s[2:3], -v[222:223]
	v_fma_f64 v[222:223], v[34:35], s[2:3], v[222:223]
	s_delay_alu instid0(VALU_DEP_2) | instskip(SKIP_1) | instid1(VALU_DEP_3)
	v_add_f64_e32 v[196:197], v[224:225], v[196:197]
	v_mul_f64_e32 v[224:225], s[50:51], v[44:45]
	v_add_f64_e32 v[202:203], v[222:223], v[202:203]
	s_delay_alu instid0(VALU_DEP_2) | instskip(SKIP_1) | instid1(VALU_DEP_2)
	v_fma_f64 v[222:223], v[42:43], s[2:3], -v[224:225]
	v_fma_f64 v[226:227], v[42:43], s[2:3], v[224:225]
	v_add_f64_e32 v[198:199], v[222:223], v[198:199]
	v_mul_f64_e32 v[222:223], s[28:29], v[24:25]
	v_mul_f64_e32 v[24:25], s[22:23], v[24:25]
	s_delay_alu instid0(VALU_DEP_4) | instskip(NEXT) | instid1(VALU_DEP_3)
	v_add_f64_e32 v[200:201], v[226:227], v[200:201]
	v_fma_f64 v[224:225], v[34:35], s[26:27], -v[222:223]
	v_fma_f64 v[222:223], v[34:35], s[26:27], v[222:223]
	s_delay_alu instid0(VALU_DEP_2) | instskip(SKIP_1) | instid1(VALU_DEP_3)
	v_add_f64_e32 v[204:205], v[224:225], v[204:205]
	v_mul_f64_e32 v[224:225], s[28:29], v[44:45]
	v_add_f64_e32 v[70:71], v[222:223], v[70:71]
	v_mul_f64_e32 v[44:45], s[22:23], v[44:45]
	s_delay_alu instid0(VALU_DEP_3) | instskip(SKIP_1) | instid1(VALU_DEP_2)
	v_fma_f64 v[222:223], v[42:43], s[26:27], -v[224:225]
	v_fma_f64 v[226:227], v[42:43], s[26:27], v[224:225]
	v_add_f64_e32 v[206:207], v[222:223], v[206:207]
	v_fma_f64 v[222:223], v[34:35], s[24:25], -v[24:25]
	v_fma_f64 v[24:25], v[34:35], s[24:25], v[24:25]
	v_add_f64_e32 v[34:35], v[18:19], v[216:217]
	v_add_f64_e64 v[18:19], v[18:19], -v[216:217]
	v_add_f64_e32 v[68:69], v[226:227], v[68:69]
	v_add_f64_e32 v[210:211], v[222:223], v[210:211]
	;; [unrolled: 1-line block ×3, first 2 shown]
	v_fma_f64 v[28:29], v[42:43], s[24:25], -v[44:45]
	v_fma_f64 v[222:223], v[42:43], s[24:25], v[44:45]
	s_delay_alu instid0(VALU_DEP_2) | instskip(SKIP_4) | instid1(VALU_DEP_3)
	v_add_f64_e32 v[28:29], v[28:29], v[30:31]
	v_add_f64_e32 v[30:31], v[20:21], v[22:23]
	v_add_f64_e64 v[20:21], v[20:21], -v[22:23]
	v_mul_f64_e32 v[22:23], s[22:23], v[18:19]
	v_add_f64_e32 v[72:73], v[222:223], v[72:73]
	v_mul_f64_e32 v[44:45], s[22:23], v[20:21]
	s_delay_alu instid0(VALU_DEP_3) | instskip(SKIP_1) | instid1(VALU_DEP_2)
	v_fma_f64 v[42:43], v[30:31], s[24:25], -v[22:23]
	v_fma_f64 v[22:23], v[30:31], s[24:25], v[22:23]
	v_add_f64_e32 v[42:43], v[42:43], v[46:47]
	s_delay_alu instid0(VALU_DEP_2) | instskip(SKIP_2) | instid1(VALU_DEP_2)
	v_add_f64_e32 v[22:23], v[22:23], v[26:27]
	v_fma_f64 v[26:27], v[34:35], s[24:25], -v[44:45]
	v_fma_f64 v[46:47], v[34:35], s[24:25], v[44:45]
	v_add_f64_e32 v[26:27], v[26:27], v[32:33]
	v_mul_f64_e32 v[32:33], s[30:31], v[18:19]
	s_delay_alu instid0(VALU_DEP_3) | instskip(NEXT) | instid1(VALU_DEP_2)
	v_add_f64_e32 v[46:47], v[46:47], v[56:57]
	v_fma_f64 v[44:45], v[30:31], s[12:13], -v[32:33]
	v_fma_f64 v[32:33], v[30:31], s[12:13], v[32:33]
	s_delay_alu instid0(VALU_DEP_2) | instskip(SKIP_1) | instid1(VALU_DEP_3)
	v_add_f64_e32 v[44:45], v[44:45], v[52:53]
	v_mul_f64_e32 v[52:53], s[30:31], v[20:21]
	v_add_f64_e32 v[32:33], v[32:33], v[48:49]
	s_delay_alu instid0(VALU_DEP_2) | instskip(SKIP_1) | instid1(VALU_DEP_2)
	v_fma_f64 v[48:49], v[34:35], s[12:13], -v[52:53]
	v_fma_f64 v[56:57], v[34:35], s[12:13], v[52:53]
	v_add_f64_e32 v[48:49], v[48:49], v[50:51]
	v_mul_f64_e32 v[50:51], s[28:29], v[18:19]
	s_delay_alu instid0(VALU_DEP_3) | instskip(NEXT) | instid1(VALU_DEP_2)
	v_add_f64_e32 v[56:57], v[56:57], v[212:213]
	v_fma_f64 v[52:53], v[30:31], s[26:27], -v[50:51]
	v_fma_f64 v[50:51], v[30:31], s[26:27], v[50:51]
	s_delay_alu instid0(VALU_DEP_2) | instskip(SKIP_1) | instid1(VALU_DEP_3)
	v_add_f64_e32 v[52:53], v[52:53], v[60:61]
	v_mul_f64_e32 v[60:61], s[28:29], v[20:21]
	v_add_f64_e32 v[50:51], v[50:51], v[54:55]
	s_delay_alu instid0(VALU_DEP_2) | instskip(SKIP_1) | instid1(VALU_DEP_2)
	v_fma_f64 v[54:55], v[34:35], s[26:27], -v[60:61]
	v_fma_f64 v[212:213], v[34:35], s[26:27], v[60:61]
	v_add_f64_e32 v[54:55], v[54:55], v[58:59]
	v_mul_f64_e32 v[58:59], s[36:37], v[18:19]
	s_delay_alu instid0(VALU_DEP_3) | instskip(NEXT) | instid1(VALU_DEP_2)
	v_add_f64_e32 v[212:213], v[212:213], v[218:219]
	v_fma_f64 v[60:61], v[30:31], s[38:39], -v[58:59]
	v_fma_f64 v[58:59], v[30:31], s[38:39], v[58:59]
	s_delay_alu instid0(VALU_DEP_2) | instskip(SKIP_1) | instid1(VALU_DEP_3)
	v_add_f64_e32 v[60:61], v[60:61], v[214:215]
	v_mul_f64_e32 v[214:215], s[36:37], v[20:21]
	v_add_f64_e32 v[58:59], v[58:59], v[74:75]
	s_delay_alu instid0(VALU_DEP_2) | instskip(SKIP_2) | instid1(VALU_DEP_3)
	v_fma_f64 v[216:217], v[34:35], s[38:39], v[214:215]
	v_fma_f64 v[74:75], v[34:35], s[38:39], -v[214:215]
	v_mul_f64_e32 v[214:215], s[50:51], v[18:19]
	v_add_f64_e32 v[36:37], v[216:217], v[36:37]
	s_delay_alu instid0(VALU_DEP_3) | instskip(NEXT) | instid1(VALU_DEP_3)
	v_add_f64_e32 v[74:75], v[74:75], v[220:221]
	v_fma_f64 v[216:217], v[30:31], s[2:3], -v[214:215]
	v_fma_f64 v[214:215], v[30:31], s[2:3], v[214:215]
	s_delay_alu instid0(VALU_DEP_2) | instskip(SKIP_1) | instid1(VALU_DEP_3)
	v_add_f64_e32 v[66:67], v[216:217], v[66:67]
	v_mul_f64_e32 v[216:217], s[50:51], v[20:21]
	v_add_f64_e32 v[63:64], v[214:215], v[63:64]
	s_delay_alu instid0(VALU_DEP_2) | instskip(SKIP_1) | instid1(VALU_DEP_2)
	v_fma_f64 v[214:215], v[34:35], s[2:3], -v[216:217]
	v_fma_f64 v[218:219], v[34:35], s[2:3], v[216:217]
	v_add_f64_e32 v[39:40], v[214:215], v[39:40]
	v_mul_f64_e32 v[214:215], s[20:21], v[18:19]
	s_delay_alu instid0(VALU_DEP_3) | instskip(NEXT) | instid1(VALU_DEP_2)
	v_add_f64_e32 v[208:209], v[218:219], v[208:209]
	v_fma_f64 v[216:217], v[30:31], s[18:19], -v[214:215]
	v_fma_f64 v[214:215], v[30:31], s[18:19], v[214:215]
	s_delay_alu instid0(VALU_DEP_2) | instskip(SKIP_1) | instid1(VALU_DEP_3)
	v_add_f64_e32 v[196:197], v[216:217], v[196:197]
	v_mul_f64_e32 v[216:217], s[20:21], v[20:21]
	v_add_f64_e32 v[202:203], v[214:215], v[202:203]
	s_delay_alu instid0(VALU_DEP_2) | instskip(SKIP_1) | instid1(VALU_DEP_2)
	v_fma_f64 v[214:215], v[34:35], s[18:19], -v[216:217]
	v_fma_f64 v[218:219], v[34:35], s[18:19], v[216:217]
	v_add_f64_e32 v[198:199], v[214:215], v[198:199]
	v_mul_f64_e32 v[214:215], s[40:41], v[18:19]
	s_delay_alu instid0(VALU_DEP_3) | instskip(SKIP_1) | instid1(VALU_DEP_3)
	v_add_f64_e32 v[200:201], v[218:219], v[200:201]
	v_mul_f64_e32 v[18:19], s[34:35], v[18:19]
	v_fma_f64 v[216:217], v[30:31], s[44:45], -v[214:215]
	v_fma_f64 v[214:215], v[30:31], s[44:45], v[214:215]
	s_delay_alu instid0(VALU_DEP_2) | instskip(SKIP_1) | instid1(VALU_DEP_3)
	v_add_f64_e32 v[204:205], v[216:217], v[204:205]
	v_mul_f64_e32 v[216:217], s[40:41], v[20:21]
	v_add_f64_e32 v[70:71], v[214:215], v[70:71]
	v_mul_f64_e32 v[20:21], s[34:35], v[20:21]
	s_delay_alu instid0(VALU_DEP_3) | instskip(SKIP_1) | instid1(VALU_DEP_2)
	v_fma_f64 v[218:219], v[34:35], s[44:45], v[216:217]
	v_fma_f64 v[214:215], v[34:35], s[44:45], -v[216:217]
	v_add_f64_e32 v[68:69], v[218:219], v[68:69]
	v_add_f64_e32 v[218:219], v[14:15], v[16:17]
	v_add_f64_e64 v[14:15], v[14:15], -v[16:17]
	s_delay_alu instid0(VALU_DEP_4) | instskip(SKIP_4) | instid1(VALU_DEP_4)
	v_add_f64_e32 v[206:207], v[214:215], v[206:207]
	v_fma_f64 v[214:215], v[30:31], s[14:15], -v[18:19]
	v_fma_f64 v[18:19], v[30:31], s[14:15], v[18:19]
	v_fma_f64 v[16:17], v[218:219], s[38:39], -v[12:13]
	v_fma_f64 v[12:13], v[218:219], s[38:39], v[12:13]
	v_add_f64_e32 v[210:211], v[214:215], v[210:211]
	v_fma_f64 v[214:215], v[34:35], s[14:15], v[20:21]
	s_delay_alu instid0(VALU_DEP_4) | instskip(SKIP_2) | instid1(VALU_DEP_4)
	v_add_f64_e32 v[42:43], v[16:17], v[42:43]
	v_mul_f64_e32 v[16:17], s[36:37], v[14:15]
	v_add_f64_e32 v[76:77], v[12:13], v[22:23]
	v_add_f64_e32 v[72:73], v[214:215], v[72:73]
	;; [unrolled: 1-line block ×3, first 2 shown]
	v_fma_f64 v[18:19], v[34:35], s[14:15], -v[20:21]
	v_fma_f64 v[12:13], v[254:255], s[38:39], -v[16:17]
	s_delay_alu instid0(VALU_DEP_2) | instskip(SKIP_1) | instid1(VALU_DEP_3)
	v_add_f64_e32 v[216:217], v[18:19], v[28:29]
	v_fma_f64 v[18:19], v[254:255], s[38:39], v[16:17]
	v_add_f64_e32 v[78:79], v[12:13], v[26:27]
	v_mul_f64_e32 v[12:13], s[34:35], v[10:11]
	s_delay_alu instid0(VALU_DEP_3) | instskip(NEXT) | instid1(VALU_DEP_2)
	v_add_f64_e32 v[46:47], v[18:19], v[46:47]
	v_fma_f64 v[16:17], v[218:219], s[14:15], -v[12:13]
	v_fma_f64 v[12:13], v[218:219], s[14:15], v[12:13]
	s_delay_alu instid0(VALU_DEP_2) | instskip(SKIP_1) | instid1(VALU_DEP_3)
	v_add_f64_e32 v[224:225], v[16:17], v[44:45]
	v_mul_f64_e32 v[16:17], s[34:35], v[14:15]
	v_add_f64_e32 v[220:221], v[12:13], v[32:33]
	s_delay_alu instid0(VALU_DEP_2) | instskip(SKIP_1) | instid1(VALU_DEP_2)
	v_fma_f64 v[12:13], v[254:255], s[14:15], -v[16:17]
	v_fma_f64 v[18:19], v[254:255], s[14:15], v[16:17]
	v_add_f64_e32 v[222:223], v[12:13], v[48:49]
	v_mul_f64_e32 v[12:13], s[8:9], v[10:11]
	s_delay_alu instid0(VALU_DEP_3) | instskip(NEXT) | instid1(VALU_DEP_2)
	v_add_f64_e32 v[226:227], v[18:19], v[56:57]
	v_fma_f64 v[16:17], v[218:219], s[2:3], -v[12:13]
	v_fma_f64 v[12:13], v[218:219], s[2:3], v[12:13]
	s_delay_alu instid0(VALU_DEP_2) | instskip(SKIP_1) | instid1(VALU_DEP_3)
	v_add_f64_e32 v[232:233], v[16:17], v[52:53]
	v_mul_f64_e32 v[16:17], s[8:9], v[14:15]
	v_add_f64_e32 v[228:229], v[12:13], v[50:51]
	s_delay_alu instid0(VALU_DEP_2) | instskip(SKIP_1) | instid1(VALU_DEP_2)
	v_fma_f64 v[12:13], v[254:255], s[2:3], -v[16:17]
	;; [unrolled: 13-line block ×5, first 2 shown]
	v_fma_f64 v[18:19], v[254:255], s[44:45], v[16:17]
	v_add_f64_e32 v[30:31], v[12:13], v[198:199]
	v_mul_f64_e32 v[12:13], s[48:49], v[10:11]
	v_mul_f64_e32 v[10:11], s[10:11], v[10:11]
	s_delay_alu instid0(VALU_DEP_4) | instskip(NEXT) | instid1(VALU_DEP_3)
	v_add_f64_e32 v[252:253], v[18:19], v[200:201]
	v_fma_f64 v[16:17], v[218:219], s[18:19], -v[12:13]
	v_fma_f64 v[12:13], v[218:219], s[18:19], v[12:13]
	s_delay_alu instid0(VALU_DEP_2) | instskip(SKIP_1) | instid1(VALU_DEP_3)
	v_add_f64_e32 v[26:27], v[16:17], v[204:205]
	v_mul_f64_e32 v[16:17], s[48:49], v[14:15]
	v_add_f64_e32 v[24:25], v[12:13], v[70:71]
	s_delay_alu instid0(VALU_DEP_2) | instskip(SKIP_3) | instid1(VALU_DEP_4)
	v_fma_f64 v[12:13], v[254:255], s[18:19], -v[16:17]
	v_fma_f64 v[18:19], v[254:255], s[18:19], v[16:17]
	v_add_f64_e32 v[16:17], v[6:7], v[8:9]
	v_add_f64_e64 v[6:7], v[6:7], -v[8:9]
	v_add_f64_e32 v[22:23], v[12:13], v[206:207]
	v_fma_f64 v[12:13], v[218:219], s[12:13], -v[10:11]
	v_fma_f64 v[10:11], v[218:219], s[12:13], v[10:11]
	v_add_f64_e32 v[28:29], v[18:19], v[68:69]
	s_delay_alu instid0(VALU_DEP_3) | instskip(SKIP_1) | instid1(VALU_DEP_1)
	v_add_f64_e32 v[20:21], v[12:13], v[210:211]
	v_mul_f64_e32 v[12:13], s[10:11], v[14:15]
	v_fma_f64 v[14:15], v[254:255], s[12:13], v[12:13]
	s_delay_alu instid0(VALU_DEP_1) | instskip(SKIP_4) | instid1(VALU_DEP_3)
	v_add_f64_e32 v[18:19], v[14:15], v[72:73]
	v_add_f64_e32 v[14:15], v[10:11], v[214:215]
	v_fma_f64 v[10:11], v[254:255], s[12:13], -v[12:13]
	v_add_f64_e32 v[12:13], v[2:3], v[4:5]
	v_add_f64_e64 v[2:3], v[2:3], -v[4:5]
	v_add_f64_e32 v[10:11], v[10:11], v[216:217]
	s_delay_alu instid0(VALU_DEP_2) | instskip(NEXT) | instid1(VALU_DEP_1)
	v_mul_f64_e32 v[4:5], s[40:41], v[2:3]
	v_fma_f64 v[8:9], v[16:17], s[44:45], -v[4:5]
	v_fma_f64 v[4:5], v[16:17], s[44:45], v[4:5]
	s_delay_alu instid0(VALU_DEP_2) | instskip(SKIP_1) | instid1(VALU_DEP_3)
	v_add_f64_e32 v[216:217], v[8:9], v[42:43]
	v_mul_f64_e32 v[8:9], s[40:41], v[6:7]
	v_add_f64_e32 v[212:213], v[4:5], v[76:77]
	s_delay_alu instid0(VALU_DEP_2) | instskip(SKIP_1) | instid1(VALU_DEP_2)
	v_fma_f64 v[4:5], v[12:13], s[44:45], -v[8:9]
	v_fma_f64 v[36:37], v[12:13], s[44:45], v[8:9]
	v_add_f64_e32 v[214:215], v[4:5], v[78:79]
	v_mul_f64_e32 v[4:5], s[46:47], v[2:3]
	s_delay_alu instid0(VALU_DEP_3) | instskip(NEXT) | instid1(VALU_DEP_2)
	v_add_f64_e32 v[218:219], v[36:37], v[46:47]
	v_fma_f64 v[8:9], v[16:17], s[26:27], -v[4:5]
	v_fma_f64 v[4:5], v[16:17], s[26:27], v[4:5]
	s_delay_alu instid0(VALU_DEP_2) | instskip(SKIP_1) | instid1(VALU_DEP_3)
	v_add_f64_e32 v[224:225], v[8:9], v[224:225]
	v_mul_f64_e32 v[8:9], s[46:47], v[6:7]
	v_add_f64_e32 v[220:221], v[4:5], v[220:221]
	s_delay_alu instid0(VALU_DEP_2) | instskip(SKIP_1) | instid1(VALU_DEP_2)
	v_fma_f64 v[4:5], v[12:13], s[26:27], -v[8:9]
	v_fma_f64 v[36:37], v[12:13], s[26:27], v[8:9]
	v_add_f64_e32 v[222:223], v[4:5], v[222:223]
	v_mul_f64_e32 v[4:5], s[36:37], v[2:3]
	s_delay_alu instid0(VALU_DEP_3) | instskip(NEXT) | instid1(VALU_DEP_2)
	v_add_f64_e32 v[226:227], v[36:37], v[226:227]
	v_fma_f64 v[8:9], v[16:17], s[38:39], -v[4:5]
	v_fma_f64 v[4:5], v[16:17], s[38:39], v[4:5]
	s_delay_alu instid0(VALU_DEP_2) | instskip(SKIP_1) | instid1(VALU_DEP_3)
	v_add_f64_e32 v[232:233], v[8:9], v[232:233]
	v_mul_f64_e32 v[8:9], s[36:37], v[6:7]
	v_add_f64_e32 v[228:229], v[4:5], v[228:229]
	s_delay_alu instid0(VALU_DEP_2) | instskip(SKIP_1) | instid1(VALU_DEP_2)
	v_fma_f64 v[4:5], v[12:13], s[38:39], -v[8:9]
	v_fma_f64 v[36:37], v[12:13], s[38:39], v[8:9]
	v_add_f64_e32 v[230:231], v[4:5], v[230:231]
	v_mul_f64_e32 v[4:5], s[48:49], v[2:3]
	s_delay_alu instid0(VALU_DEP_3) | instskip(NEXT) | instid1(VALU_DEP_2)
	v_add_f64_e32 v[234:235], v[36:37], v[234:235]
	v_fma_f64 v[8:9], v[16:17], s[18:19], -v[4:5]
	v_fma_f64 v[4:5], v[16:17], s[18:19], v[4:5]
	s_delay_alu instid0(VALU_DEP_2) | instskip(SKIP_1) | instid1(VALU_DEP_3)
	v_add_f64_e32 v[240:241], v[8:9], v[240:241]
	v_mul_f64_e32 v[8:9], s[48:49], v[6:7]
	v_add_f64_e32 v[236:237], v[4:5], v[236:237]
	s_delay_alu instid0(VALU_DEP_2) | instskip(SKIP_1) | instid1(VALU_DEP_2)
	v_fma_f64 v[4:5], v[12:13], s[18:19], -v[8:9]
	v_fma_f64 v[36:37], v[12:13], s[18:19], v[8:9]
	v_add_f64_e32 v[238:239], v[4:5], v[238:239]
	v_mul_f64_e32 v[4:5], s[22:23], v[2:3]
	s_delay_alu instid0(VALU_DEP_3) | instskip(NEXT) | instid1(VALU_DEP_2)
	v_add_f64_e32 v[242:243], v[36:37], v[242:243]
	v_fma_f64 v[8:9], v[16:17], s[24:25], -v[4:5]
	v_fma_f64 v[4:5], v[16:17], s[24:25], v[4:5]
	s_delay_alu instid0(VALU_DEP_2) | instskip(SKIP_1) | instid1(VALU_DEP_3)
	v_add_f64_e32 v[248:249], v[8:9], v[248:249]
	v_mul_f64_e32 v[8:9], s[22:23], v[6:7]
	v_add_f64_e32 v[244:245], v[4:5], v[244:245]
	s_delay_alu instid0(VALU_DEP_2) | instskip(SKIP_1) | instid1(VALU_DEP_2)
	v_fma_f64 v[4:5], v[12:13], s[24:25], -v[8:9]
	v_fma_f64 v[36:37], v[12:13], s[24:25], v[8:9]
	v_add_f64_e32 v[246:247], v[4:5], v[246:247]
	v_mul_f64_e32 v[4:5], s[34:35], v[2:3]
	s_delay_alu instid0(VALU_DEP_3) | instskip(NEXT) | instid1(VALU_DEP_2)
	v_add_f64_e32 v[250:251], v[36:37], v[250:251]
	v_fma_f64 v[8:9], v[16:17], s[14:15], -v[4:5]
	v_fma_f64 v[4:5], v[16:17], s[14:15], v[4:5]
	s_delay_alu instid0(VALU_DEP_2) | instskip(SKIP_1) | instid1(VALU_DEP_3)
	v_add_f64_e32 v[42:43], v[8:9], v[34:35]
	v_mul_f64_e32 v[8:9], s[34:35], v[6:7]
	v_add_f64_e32 v[32:33], v[4:5], v[32:33]
	s_delay_alu instid0(VALU_DEP_2) | instskip(SKIP_1) | instid1(VALU_DEP_2)
	v_fma_f64 v[34:35], v[12:13], s[14:15], v[8:9]
	v_fma_f64 v[4:5], v[12:13], s[14:15], -v[8:9]
	v_add_f64_e32 v[44:45], v[34:35], v[252:253]
	s_delay_alu instid0(VALU_DEP_2) | instskip(SKIP_1) | instid1(VALU_DEP_1)
	v_add_f64_e32 v[34:35], v[4:5], v[30:31]
	v_mul_f64_e32 v[4:5], s[10:11], v[2:3]
	v_fma_f64 v[8:9], v[16:17], s[12:13], -v[4:5]
	v_fma_f64 v[4:5], v[16:17], s[12:13], v[4:5]
	s_delay_alu instid0(VALU_DEP_2) | instskip(SKIP_1) | instid1(VALU_DEP_3)
	v_add_f64_e32 v[26:27], v[8:9], v[26:27]
	v_mul_f64_e32 v[8:9], s[10:11], v[6:7]
	v_add_f64_e32 v[46:47], v[4:5], v[24:25]
	s_delay_alu instid0(VALU_DEP_2) | instskip(SKIP_2) | instid1(VALU_DEP_3)
	v_fma_f64 v[30:31], v[12:13], s[12:13], v[8:9]
	v_fma_f64 v[4:5], v[12:13], s[12:13], -v[8:9]
	v_mul_f64_e32 v[8:9], s[50:51], v[2:3]
	v_add_f64_e32 v[28:29], v[30:31], v[28:29]
	s_delay_alu instid0(VALU_DEP_3) | instskip(NEXT) | instid1(VALU_DEP_3)
	v_add_f64_e32 v[48:49], v[4:5], v[22:23]
	v_fma_f64 v[2:3], v[16:17], s[2:3], -v[8:9]
	s_delay_alu instid0(VALU_DEP_1) | instskip(SKIP_2) | instid1(VALU_DEP_2)
	v_add_f64_e32 v[2:3], v[2:3], v[20:21]
	v_mul_f64_e32 v[20:21], s[50:51], v[6:7]
	v_fma_f64 v[6:7], v[16:17], s[2:3], v[8:9]
	v_fma_f64 v[8:9], v[12:13], s[2:3], -v[20:21]
	v_fma_f64 v[4:5], v[12:13], s[2:3], v[20:21]
	s_delay_alu instid0(VALU_DEP_3) | instskip(NEXT) | instid1(VALU_DEP_3)
	v_add_f64_e32 v[6:7], v[6:7], v[14:15]
	v_add_f64_e32 v[8:9], v[8:9], v[10:11]
	scratch_load_b128 v[10:13], off, off offset:356 th:TH_LOAD_LU ; 16-byte Folded Reload
	v_add_f64_e32 v[4:5], v[4:5], v[18:19]
	s_wait_loadcnt 0x0
	ds_store_b128 v62, v[10:13]
	ds_store_b128 v62, v[216:219] offset:1360
	ds_store_b128 v62, v[224:227] offset:2720
	;; [unrolled: 1-line block ×16, first 2 shown]
	global_wb scope:SCOPE_SE
	s_wait_storecnt_dscnt 0x0
	s_barrier_signal -1
	s_barrier_wait -1
	global_inv scope:SCOPE_SE
	global_load_b128 v[6:9], v[0:1], off offset:23120
	ds_load_b128 v[2:5], v62
	s_wait_loadcnt_dscnt 0x0
	v_mul_f64_e32 v[0:1], v[4:5], v[8:9]
	s_delay_alu instid0(VALU_DEP_1) | instskip(SKIP_1) | instid1(VALU_DEP_1)
	v_fma_f64 v[0:1], v[2:3], v[6:7], -v[0:1]
	v_mul_f64_e32 v[2:3], v[2:3], v[8:9]
	v_fma_f64 v[2:3], v[4:5], v[6:7], v[2:3]
	global_load_b128 v[4:7], v62, s[56:57] offset:1360
	ds_store_b128 v62, v[0:3]
	ds_load_b128 v[0:3], v62 offset:1360
	s_wait_loadcnt_dscnt 0x0
	v_mul_f64_e32 v[8:9], v[2:3], v[6:7]
	s_delay_alu instid0(VALU_DEP_1) | instskip(SKIP_1) | instid1(VALU_DEP_1)
	v_fma_f64 v[8:9], v[0:1], v[4:5], -v[8:9]
	v_mul_f64_e32 v[0:1], v[0:1], v[6:7]
	v_fma_f64 v[10:11], v[2:3], v[4:5], v[0:1]
	ds_load_b128 v[0:3], v62 offset:2720
	global_load_b128 v[4:7], v62, s[56:57] offset:2720
	ds_store_b128 v62, v[8:11] offset:1360
	s_wait_loadcnt_dscnt 0x1
	v_mul_f64_e32 v[8:9], v[2:3], v[6:7]
	s_delay_alu instid0(VALU_DEP_1) | instskip(SKIP_1) | instid1(VALU_DEP_1)
	v_fma_f64 v[8:9], v[0:1], v[4:5], -v[8:9]
	v_mul_f64_e32 v[0:1], v[0:1], v[6:7]
	v_fma_f64 v[10:11], v[2:3], v[4:5], v[0:1]
	ds_load_b128 v[0:3], v62 offset:4080
	global_load_b128 v[4:7], v62, s[56:57] offset:4080
	ds_store_b128 v62, v[8:11] offset:2720
	;; [unrolled: 9-line block ×15, first 2 shown]
	s_wait_loadcnt_dscnt 0x1
	v_mul_f64_e32 v[8:9], v[2:3], v[6:7]
	s_delay_alu instid0(VALU_DEP_1) | instskip(SKIP_1) | instid1(VALU_DEP_1)
	v_fma_f64 v[8:9], v[0:1], v[4:5], -v[8:9]
	v_mul_f64_e32 v[0:1], v[0:1], v[6:7]
	v_fma_f64 v[10:11], v[2:3], v[4:5], v[0:1]
	ds_store_b128 v62, v[8:11] offset:21760
	global_wb scope:SCOPE_SE
	s_wait_dscnt 0x0
	s_barrier_signal -1
	s_barrier_wait -1
	global_inv scope:SCOPE_SE
	ds_load_b128 v[0:3], v62
	ds_load_b128 v[4:7], v62 offset:1360
	ds_load_b128 v[8:11], v62 offset:2720
	;; [unrolled: 1-line block ×16, first 2 shown]
	global_wb scope:SCOPE_SE
	s_wait_dscnt 0x0
	s_barrier_signal -1
	s_barrier_wait -1
	global_inv scope:SCOPE_SE
	v_add_f64_e32 v[39:40], v[2:3], v[6:7]
	v_add_f64_e32 v[36:37], v[0:1], v[4:5]
	s_delay_alu instid0(VALU_DEP_2) | instskip(NEXT) | instid1(VALU_DEP_2)
	v_add_f64_e32 v[39:40], v[39:40], v[10:11]
	v_add_f64_e32 v[36:37], v[36:37], v[8:9]
	s_delay_alu instid0(VALU_DEP_2) | instskip(NEXT) | instid1(VALU_DEP_2)
	;; [unrolled: 3-line block ×14, first 2 shown]
	v_add_f64_e32 v[39:40], v[39:40], v[30:31]
	v_add_f64_e32 v[36:37], v[36:37], v[28:29]
	s_delay_alu instid0(VALU_DEP_2) | instskip(SKIP_2) | instid1(VALU_DEP_4)
	v_add_f64_e32 v[210:211], v[39:40], v[34:35]
	v_add_f64_e32 v[39:40], v[6:7], v[34:35]
	v_add_f64_e64 v[6:7], v[6:7], -v[34:35]
	v_add_f64_e32 v[208:209], v[36:37], v[32:33]
	v_add_f64_e32 v[36:37], v[4:5], v[32:33]
	v_add_f64_e64 v[4:5], v[4:5], -v[32:33]
	v_mul_f64_e32 v[42:43], s[26:27], v[39:40]
	v_mul_f64_e32 v[32:33], s[28:29], v[6:7]
	v_mul_f64_e32 v[46:47], s[20:21], v[6:7]
	v_mul_f64_e32 v[54:55], s[16:17], v[6:7]
	v_mul_f64_e32 v[63:64], s[8:9], v[6:7]
	v_mul_f64_e32 v[72:73], s[10:11], v[6:7]
	v_mul_f64_e32 v[196:197], s[22:23], v[6:7]
	v_mul_f64_e32 v[204:205], s[36:37], v[6:7]
	v_mul_f64_e32 v[6:7], s[40:41], v[6:7]
	v_mul_f64_e32 v[50:51], s[18:19], v[39:40]
	v_mul_f64_e32 v[58:59], s[14:15], v[39:40]
	v_mul_f64_e32 v[68:69], s[2:3], v[39:40]
	v_mul_f64_e32 v[76:77], s[12:13], v[39:40]
	v_mul_f64_e32 v[200:201], s[24:25], v[39:40]
	v_mul_f64_e32 v[244:245], s[38:39], v[39:40]
	v_mul_f64_e32 v[39:40], s[44:45], v[39:40]
	v_fma_f64 v[44:45], v[4:5], s[46:47], v[42:43]
	v_fma_f64 v[34:35], v[36:37], s[26:27], v[32:33]
	v_fma_f64 v[32:33], v[36:37], s[26:27], -v[32:33]
	v_fma_f64 v[48:49], v[36:37], s[18:19], v[46:47]
	v_fma_f64 v[46:47], v[36:37], s[18:19], -v[46:47]
	;; [unrolled: 2-line block ×8, first 2 shown]
	v_fma_f64 v[42:43], v[4:5], s[28:29], v[42:43]
	v_fma_f64 v[52:53], v[4:5], s[48:49], v[50:51]
	;; [unrolled: 1-line block ×15, first 2 shown]
	v_add_f64_e32 v[44:45], v[2:3], v[44:45]
	v_add_f64_e32 v[34:35], v[0:1], v[34:35]
	;; [unrolled: 1-line block ×18, first 2 shown]
	v_add_f64_e64 v[10:11], v[10:11], -v[30:31]
	v_add_f64_e32 v[42:43], v[2:3], v[42:43]
	v_add_f64_e32 v[52:53], v[2:3], v[52:53]
	;; [unrolled: 1-line block ×16, first 2 shown]
	v_add_f64_e64 v[8:9], v[8:9], -v[28:29]
	v_mul_f64_e32 v[28:29], s[20:21], v[10:11]
	s_delay_alu instid0(VALU_DEP_1) | instskip(SKIP_1) | instid1(VALU_DEP_2)
	v_fma_f64 v[30:31], v[4:5], s[18:19], v[28:29]
	v_fma_f64 v[28:29], v[4:5], s[18:19], -v[28:29]
	v_add_f64_e32 v[30:31], v[30:31], v[34:35]
	v_mul_f64_e32 v[34:35], s[18:19], v[6:7]
	s_delay_alu instid0(VALU_DEP_3) | instskip(NEXT) | instid1(VALU_DEP_2)
	v_add_f64_e32 v[28:29], v[28:29], v[32:33]
	v_fma_f64 v[36:37], v[8:9], s[48:49], v[34:35]
	v_fma_f64 v[32:33], v[8:9], s[20:21], v[34:35]
	v_mul_f64_e32 v[34:35], s[8:9], v[10:11]
	s_delay_alu instid0(VALU_DEP_3) | instskip(NEXT) | instid1(VALU_DEP_3)
	v_add_f64_e32 v[36:37], v[36:37], v[44:45]
	v_add_f64_e32 v[32:33], v[32:33], v[42:43]
	s_delay_alu instid0(VALU_DEP_3) | instskip(SKIP_2) | instid1(VALU_DEP_3)
	v_fma_f64 v[39:40], v[4:5], s[2:3], v[34:35]
	v_fma_f64 v[34:35], v[4:5], s[2:3], -v[34:35]
	v_mul_f64_e32 v[42:43], s[2:3], v[6:7]
	v_add_f64_e32 v[39:40], v[39:40], v[48:49]
	s_delay_alu instid0(VALU_DEP_3) | instskip(SKIP_1) | instid1(VALU_DEP_4)
	v_add_f64_e32 v[34:35], v[34:35], v[46:47]
	v_mul_f64_e32 v[46:47], s[22:23], v[10:11]
	v_fma_f64 v[44:45], v[8:9], s[50:51], v[42:43]
	v_fma_f64 v[42:43], v[8:9], s[8:9], v[42:43]
	s_delay_alu instid0(VALU_DEP_3) | instskip(SKIP_1) | instid1(VALU_DEP_3)
	v_fma_f64 v[48:49], v[4:5], s[24:25], v[46:47]
	v_fma_f64 v[46:47], v[4:5], s[24:25], -v[46:47]
	v_add_f64_e32 v[42:43], v[42:43], v[50:51]
	v_mul_f64_e32 v[50:51], s[24:25], v[6:7]
	v_add_f64_e32 v[44:45], v[44:45], v[52:53]
	v_add_f64_e32 v[48:49], v[48:49], v[56:57]
	v_add_f64_e32 v[46:47], v[46:47], v[54:55]
	v_mul_f64_e32 v[54:55], s[40:41], v[10:11]
	v_fma_f64 v[52:53], v[8:9], s[54:55], v[50:51]
	v_fma_f64 v[50:51], v[8:9], s[22:23], v[50:51]
	s_delay_alu instid0(VALU_DEP_3) | instskip(SKIP_1) | instid1(VALU_DEP_3)
	v_fma_f64 v[56:57], v[4:5], s[44:45], v[54:55]
	v_fma_f64 v[54:55], v[4:5], s[44:45], -v[54:55]
	v_add_f64_e32 v[50:51], v[50:51], v[58:59]
	v_mul_f64_e32 v[58:59], s[44:45], v[6:7]
	v_add_f64_e32 v[52:53], v[52:53], v[60:61]
	v_add_f64_e32 v[56:57], v[56:57], v[66:67]
	;; [unrolled: 11-line block ×4, first 2 shown]
	v_add_f64_e32 v[72:73], v[72:73], v[196:197]
	v_mul_f64_e32 v[196:197], s[34:35], v[10:11]
	v_fma_f64 v[78:79], v[8:9], s[10:11], v[76:77]
	v_fma_f64 v[76:77], v[8:9], s[30:31], v[76:77]
	v_mul_f64_e32 v[10:11], s[46:47], v[10:11]
	s_delay_alu instid0(VALU_DEP_4) | instskip(SKIP_1) | instid1(VALU_DEP_4)
	v_fma_f64 v[198:199], v[4:5], s[14:15], v[196:197]
	v_fma_f64 v[196:197], v[4:5], s[14:15], -v[196:197]
	v_add_f64_e32 v[76:77], v[76:77], v[200:201]
	v_mul_f64_e32 v[200:201], s[14:15], v[6:7]
	v_mul_f64_e32 v[6:7], s[26:27], v[6:7]
	v_add_f64_e32 v[78:79], v[78:79], v[202:203]
	v_add_f64_e32 v[198:199], v[198:199], v[206:207]
	;; [unrolled: 1-line block ×3, first 2 shown]
	v_fma_f64 v[204:205], v[4:5], s[26:27], v[10:11]
	v_fma_f64 v[4:5], v[4:5], s[26:27], -v[10:11]
	v_add_f64_e64 v[10:11], v[14:15], -v[26:27]
	v_fma_f64 v[202:203], v[8:9], s[16:17], v[200:201]
	v_fma_f64 v[200:201], v[8:9], s[34:35], v[200:201]
	;; [unrolled: 1-line block ×3, first 2 shown]
	v_add_f64_e32 v[204:205], v[204:205], v[248:249]
	v_add_f64_e32 v[0:1], v[4:5], v[0:1]
	v_fma_f64 v[4:5], v[8:9], s[46:47], v[6:7]
	v_add_f64_e64 v[8:9], v[12:13], -v[24:25]
	v_add_f64_e32 v[6:7], v[14:15], v[26:27]
	v_add_f64_e32 v[200:201], v[200:201], v[244:245]
	;; [unrolled: 1-line block ×6, first 2 shown]
	v_mul_f64_e32 v[12:13], s[16:17], v[10:11]
	v_mul_f64_e32 v[24:25], s[14:15], v[6:7]
	s_delay_alu instid0(VALU_DEP_2) | instskip(SKIP_1) | instid1(VALU_DEP_3)
	v_fma_f64 v[14:15], v[4:5], s[14:15], v[12:13]
	v_fma_f64 v[12:13], v[4:5], s[14:15], -v[12:13]
	v_fma_f64 v[26:27], v[8:9], s[34:35], v[24:25]
	v_fma_f64 v[24:25], v[8:9], s[16:17], v[24:25]
	s_delay_alu instid0(VALU_DEP_4) | instskip(NEXT) | instid1(VALU_DEP_4)
	v_add_f64_e32 v[14:15], v[14:15], v[30:31]
	v_add_f64_e32 v[12:13], v[12:13], v[28:29]
	v_mul_f64_e32 v[28:29], s[22:23], v[10:11]
	s_delay_alu instid0(VALU_DEP_4) | instskip(SKIP_2) | instid1(VALU_DEP_4)
	v_add_f64_e32 v[24:25], v[24:25], v[32:33]
	v_mul_f64_e32 v[32:33], s[24:25], v[6:7]
	v_add_f64_e32 v[26:27], v[26:27], v[36:37]
	v_fma_f64 v[30:31], v[4:5], s[24:25], v[28:29]
	v_fma_f64 v[28:29], v[4:5], s[24:25], -v[28:29]
	s_delay_alu instid0(VALU_DEP_4) | instskip(SKIP_1) | instid1(VALU_DEP_4)
	v_fma_f64 v[36:37], v[8:9], s[54:55], v[32:33]
	v_fma_f64 v[32:33], v[8:9], s[22:23], v[32:33]
	v_add_f64_e32 v[30:31], v[30:31], v[39:40]
	s_delay_alu instid0(VALU_DEP_4) | instskip(SKIP_1) | instid1(VALU_DEP_4)
	v_add_f64_e32 v[28:29], v[28:29], v[34:35]
	v_mul_f64_e32 v[34:35], s[52:53], v[10:11]
	v_add_f64_e32 v[32:33], v[32:33], v[42:43]
	v_mul_f64_e32 v[42:43], s[44:45], v[6:7]
	v_add_f64_e32 v[36:37], v[36:37], v[44:45]
	s_delay_alu instid0(VALU_DEP_4) | instskip(SKIP_1) | instid1(VALU_DEP_4)
	v_fma_f64 v[39:40], v[4:5], s[44:45], v[34:35]
	v_fma_f64 v[34:35], v[4:5], s[44:45], -v[34:35]
	v_fma_f64 v[44:45], v[8:9], s[40:41], v[42:43]
	v_fma_f64 v[42:43], v[8:9], s[52:53], v[42:43]
	s_delay_alu instid0(VALU_DEP_4) | instskip(NEXT) | instid1(VALU_DEP_4)
	v_add_f64_e32 v[39:40], v[39:40], v[48:49]
	v_add_f64_e32 v[34:35], v[34:35], v[46:47]
	v_mul_f64_e32 v[46:47], s[30:31], v[10:11]
	s_delay_alu instid0(VALU_DEP_4) | instskip(SKIP_2) | instid1(VALU_DEP_4)
	v_add_f64_e32 v[42:43], v[42:43], v[50:51]
	v_mul_f64_e32 v[50:51], s[12:13], v[6:7]
	v_add_f64_e32 v[44:45], v[44:45], v[52:53]
	v_fma_f64 v[48:49], v[4:5], s[12:13], v[46:47]
	v_fma_f64 v[46:47], v[4:5], s[12:13], -v[46:47]
	s_delay_alu instid0(VALU_DEP_4) | instskip(SKIP_1) | instid1(VALU_DEP_4)
	v_fma_f64 v[52:53], v[8:9], s[10:11], v[50:51]
	v_fma_f64 v[50:51], v[8:9], s[30:31], v[50:51]
	v_add_f64_e32 v[48:49], v[48:49], v[56:57]
	s_delay_alu instid0(VALU_DEP_4) | instskip(SKIP_1) | instid1(VALU_DEP_4)
	v_add_f64_e32 v[46:47], v[46:47], v[54:55]
	v_mul_f64_e32 v[54:55], s[48:49], v[10:11]
	v_add_f64_e32 v[50:51], v[50:51], v[58:59]
	v_mul_f64_e32 v[58:59], s[18:19], v[6:7]
	v_add_f64_e32 v[52:53], v[52:53], v[60:61]
	s_delay_alu instid0(VALU_DEP_4) | instskip(SKIP_1) | instid1(VALU_DEP_4)
	v_fma_f64 v[56:57], v[4:5], s[18:19], v[54:55]
	v_fma_f64 v[54:55], v[4:5], s[18:19], -v[54:55]
	v_fma_f64 v[60:61], v[8:9], s[20:21], v[58:59]
	v_fma_f64 v[58:59], v[8:9], s[48:49], v[58:59]
	s_delay_alu instid0(VALU_DEP_4) | instskip(NEXT) | instid1(VALU_DEP_4)
	v_add_f64_e32 v[56:57], v[56:57], v[66:67]
	v_add_f64_e32 v[54:55], v[54:55], v[63:64]
	v_mul_f64_e32 v[63:64], s[28:29], v[10:11]
	s_delay_alu instid0(VALU_DEP_4) | instskip(SKIP_2) | instid1(VALU_DEP_4)
	v_add_f64_e32 v[58:59], v[58:59], v[68:69]
	v_mul_f64_e32 v[68:69], s[26:27], v[6:7]
	v_add_f64_e32 v[60:61], v[60:61], v[70:71]
	v_fma_f64 v[66:67], v[4:5], s[26:27], v[63:64]
	v_fma_f64 v[63:64], v[4:5], s[26:27], -v[63:64]
	s_delay_alu instid0(VALU_DEP_4) | instskip(SKIP_1) | instid1(VALU_DEP_4)
	v_fma_f64 v[70:71], v[8:9], s[46:47], v[68:69]
	v_fma_f64 v[68:69], v[8:9], s[28:29], v[68:69]
	v_add_f64_e32 v[66:67], v[66:67], v[74:75]
	s_delay_alu instid0(VALU_DEP_4)
	v_add_f64_e32 v[63:64], v[63:64], v[72:73]
	v_mul_f64_e32 v[72:73], s[8:9], v[10:11]
	v_mul_f64_e32 v[10:11], s[36:37], v[10:11]
	v_add_f64_e32 v[68:69], v[68:69], v[76:77]
	v_mul_f64_e32 v[76:77], s[2:3], v[6:7]
	v_mul_f64_e32 v[6:7], s[38:39], v[6:7]
	v_add_f64_e32 v[70:71], v[70:71], v[78:79]
	v_fma_f64 v[74:75], v[4:5], s[2:3], v[72:73]
	v_fma_f64 v[72:73], v[4:5], s[2:3], -v[72:73]
	v_fma_f64 v[78:79], v[8:9], s[50:51], v[76:77]
	v_fma_f64 v[76:77], v[8:9], s[8:9], v[76:77]
	s_delay_alu instid0(VALU_DEP_4) | instskip(NEXT) | instid1(VALU_DEP_4)
	v_add_f64_e32 v[74:75], v[74:75], v[198:199]
	v_add_f64_e32 v[72:73], v[72:73], v[196:197]
	v_fma_f64 v[196:197], v[4:5], s[38:39], v[10:11]
	v_fma_f64 v[4:5], v[4:5], s[38:39], -v[10:11]
	v_add_f64_e64 v[10:11], v[18:19], -v[22:23]
	v_fma_f64 v[198:199], v[8:9], s[42:43], v[6:7]
	v_add_f64_e32 v[76:77], v[76:77], v[200:201]
	v_add_f64_e32 v[78:79], v[78:79], v[202:203]
	v_add_f64_e32 v[196:197], v[196:197], v[204:205]
	v_add_f64_e32 v[0:1], v[4:5], v[0:1]
	v_fma_f64 v[4:5], v[8:9], s[36:37], v[6:7]
	v_add_f64_e64 v[8:9], v[16:17], -v[20:21]
	v_add_f64_e32 v[6:7], v[18:19], v[22:23]
	v_add_f64_e32 v[198:199], v[198:199], v[206:207]
	s_delay_alu instid0(VALU_DEP_4) | instskip(SKIP_2) | instid1(VALU_DEP_1)
	v_add_f64_e32 v[2:3], v[4:5], v[2:3]
	v_add_f64_e32 v[4:5], v[16:17], v[20:21]
	v_mul_f64_e32 v[16:17], s[8:9], v[10:11]
	v_fma_f64 v[18:19], v[4:5], s[2:3], v[16:17]
	v_fma_f64 v[16:17], v[4:5], s[2:3], -v[16:17]
	s_delay_alu instid0(VALU_DEP_2) | instskip(SKIP_1) | instid1(VALU_DEP_3)
	v_add_f64_e32 v[14:15], v[18:19], v[14:15]
	v_mul_f64_e32 v[18:19], s[2:3], v[6:7]
	v_add_f64_e32 v[12:13], v[16:17], v[12:13]
	s_delay_alu instid0(VALU_DEP_2) | instskip(SKIP_2) | instid1(VALU_DEP_3)
	v_fma_f64 v[20:21], v[8:9], s[50:51], v[18:19]
	v_fma_f64 v[16:17], v[8:9], s[8:9], v[18:19]
	v_mul_f64_e32 v[18:19], s[40:41], v[10:11]
	v_add_f64_e32 v[20:21], v[20:21], v[26:27]
	s_delay_alu instid0(VALU_DEP_3) | instskip(NEXT) | instid1(VALU_DEP_3)
	v_add_f64_e32 v[16:17], v[16:17], v[24:25]
	v_fma_f64 v[22:23], v[4:5], s[44:45], v[18:19]
	v_fma_f64 v[18:19], v[4:5], s[44:45], -v[18:19]
	v_mul_f64_e32 v[24:25], s[44:45], v[6:7]
	s_delay_alu instid0(VALU_DEP_3) | instskip(NEXT) | instid1(VALU_DEP_3)
	v_add_f64_e32 v[22:23], v[22:23], v[30:31]
	v_add_f64_e32 v[18:19], v[18:19], v[28:29]
	v_mul_f64_e32 v[28:29], s[30:31], v[10:11]
	s_delay_alu instid0(VALU_DEP_4) | instskip(SKIP_1) | instid1(VALU_DEP_3)
	v_fma_f64 v[26:27], v[8:9], s[52:53], v[24:25]
	v_fma_f64 v[24:25], v[8:9], s[40:41], v[24:25]
	;; [unrolled: 1-line block ×3, first 2 shown]
	v_fma_f64 v[28:29], v[4:5], s[12:13], -v[28:29]
	s_delay_alu instid0(VALU_DEP_3)
	v_add_f64_e32 v[24:25], v[24:25], v[32:33]
	v_mul_f64_e32 v[32:33], s[12:13], v[6:7]
	v_add_f64_e32 v[26:27], v[26:27], v[36:37]
	v_add_f64_e32 v[30:31], v[30:31], v[39:40]
	v_add_f64_e32 v[28:29], v[28:29], v[34:35]
	v_mul_f64_e32 v[34:35], s[46:47], v[10:11]
	v_fma_f64 v[36:37], v[8:9], s[10:11], v[32:33]
	v_fma_f64 v[32:33], v[8:9], s[30:31], v[32:33]
	s_delay_alu instid0(VALU_DEP_3) | instskip(SKIP_1) | instid1(VALU_DEP_3)
	v_fma_f64 v[39:40], v[4:5], s[26:27], v[34:35]
	v_fma_f64 v[34:35], v[4:5], s[26:27], -v[34:35]
	v_add_f64_e32 v[32:33], v[32:33], v[42:43]
	v_mul_f64_e32 v[42:43], s[26:27], v[6:7]
	v_add_f64_e32 v[36:37], v[36:37], v[44:45]
	v_add_f64_e32 v[39:40], v[39:40], v[48:49]
	v_add_f64_e32 v[34:35], v[34:35], v[46:47]
	v_mul_f64_e32 v[46:47], s[16:17], v[10:11]
	v_fma_f64 v[44:45], v[8:9], s[28:29], v[42:43]
	v_fma_f64 v[42:43], v[8:9], s[46:47], v[42:43]
	s_delay_alu instid0(VALU_DEP_3) | instskip(SKIP_1) | instid1(VALU_DEP_3)
	v_fma_f64 v[48:49], v[4:5], s[14:15], v[46:47]
	v_fma_f64 v[46:47], v[4:5], s[14:15], -v[46:47]
	v_add_f64_e32 v[42:43], v[42:43], v[50:51]
	v_mul_f64_e32 v[50:51], s[14:15], v[6:7]
	v_add_f64_e32 v[44:45], v[44:45], v[52:53]
	v_add_f64_e32 v[48:49], v[48:49], v[56:57]
	v_add_f64_e32 v[46:47], v[46:47], v[54:55]
	v_mul_f64_e32 v[54:55], s[36:37], v[10:11]
	v_fma_f64 v[52:53], v[8:9], s[34:35], v[50:51]
	v_fma_f64 v[50:51], v[8:9], s[16:17], v[50:51]
	s_delay_alu instid0(VALU_DEP_3) | instskip(SKIP_1) | instid1(VALU_DEP_3)
	v_fma_f64 v[56:57], v[4:5], s[38:39], v[54:55]
	v_fma_f64 v[54:55], v[4:5], s[38:39], -v[54:55]
	v_add_f64_e32 v[50:51], v[50:51], v[58:59]
	v_mul_f64_e32 v[58:59], s[38:39], v[6:7]
	v_add_f64_e32 v[52:53], v[52:53], v[60:61]
	v_add_f64_e32 v[56:57], v[56:57], v[66:67]
	;; [unrolled: 1-line block ×3, first 2 shown]
	v_mul_f64_e32 v[63:64], s[54:55], v[10:11]
	v_fma_f64 v[60:61], v[8:9], s[42:43], v[58:59]
	v_fma_f64 v[58:59], v[8:9], s[36:37], v[58:59]
	v_mul_f64_e32 v[10:11], s[48:49], v[10:11]
	s_delay_alu instid0(VALU_DEP_4) | instskip(SKIP_1) | instid1(VALU_DEP_4)
	v_fma_f64 v[66:67], v[4:5], s[24:25], v[63:64]
	v_fma_f64 v[63:64], v[4:5], s[24:25], -v[63:64]
	v_add_f64_e32 v[58:59], v[58:59], v[68:69]
	v_mul_f64_e32 v[68:69], s[24:25], v[6:7]
	v_mul_f64_e32 v[6:7], s[18:19], v[6:7]
	v_add_f64_e32 v[60:61], v[60:61], v[70:71]
	v_add_f64_e32 v[66:67], v[66:67], v[74:75]
	;; [unrolled: 1-line block ×3, first 2 shown]
	v_fma_f64 v[72:73], v[4:5], s[18:19], v[10:11]
	v_fma_f64 v[4:5], v[4:5], s[18:19], -v[10:11]
	v_fma_f64 v[70:71], v[8:9], s[22:23], v[68:69]
	v_fma_f64 v[68:69], v[8:9], s[54:55], v[68:69]
	v_add_f64_e64 v[10:11], v[238:239], -v[242:243]
	v_fma_f64 v[74:75], v[8:9], s[20:21], v[6:7]
	v_add_f64_e32 v[72:73], v[72:73], v[196:197]
	v_add_f64_e32 v[0:1], v[4:5], v[0:1]
	v_fma_f64 v[4:5], v[8:9], s[48:49], v[6:7]
	v_add_f64_e32 v[68:69], v[68:69], v[76:77]
	v_mul_f64_e32 v[76:77], s[10:11], v[10:11]
	v_add_f64_e32 v[70:71], v[70:71], v[78:79]
	v_add_f64_e32 v[6:7], v[238:239], v[242:243]
	v_add_f64_e64 v[8:9], v[236:237], -v[240:241]
	v_add_f64_e32 v[74:75], v[74:75], v[198:199]
	v_add_f64_e64 v[198:199], v[220:221], -v[224:225]
	v_add_f64_e32 v[2:3], v[4:5], v[2:3]
	v_add_f64_e32 v[4:5], v[236:237], v[240:241]
	s_delay_alu instid0(VALU_DEP_1) | instskip(SKIP_1) | instid1(VALU_DEP_2)
	v_fma_f64 v[78:79], v[4:5], s[12:13], v[76:77]
	v_fma_f64 v[76:77], v[4:5], s[12:13], -v[76:77]
	v_add_f64_e32 v[14:15], v[78:79], v[14:15]
	v_mul_f64_e32 v[78:79], s[12:13], v[6:7]
	s_delay_alu instid0(VALU_DEP_3) | instskip(NEXT) | instid1(VALU_DEP_2)
	v_add_f64_e32 v[12:13], v[76:77], v[12:13]
	v_fma_f64 v[76:77], v[8:9], s[10:11], v[78:79]
	v_fma_f64 v[196:197], v[8:9], s[30:31], v[78:79]
	s_delay_alu instid0(VALU_DEP_2) | instskip(SKIP_1) | instid1(VALU_DEP_3)
	v_add_f64_e32 v[16:17], v[76:77], v[16:17]
	v_mul_f64_e32 v[76:77], s[42:43], v[10:11]
	v_add_f64_e32 v[20:21], v[196:197], v[20:21]
	s_delay_alu instid0(VALU_DEP_2) | instskip(SKIP_1) | instid1(VALU_DEP_2)
	v_fma_f64 v[78:79], v[4:5], s[38:39], v[76:77]
	v_fma_f64 v[76:77], v[4:5], s[38:39], -v[76:77]
	v_add_f64_e32 v[22:23], v[78:79], v[22:23]
	v_mul_f64_e32 v[78:79], s[38:39], v[6:7]
	s_delay_alu instid0(VALU_DEP_3) | instskip(NEXT) | instid1(VALU_DEP_2)
	v_add_f64_e32 v[18:19], v[76:77], v[18:19]
	v_fma_f64 v[76:77], v[8:9], s[42:43], v[78:79]
	v_fma_f64 v[196:197], v[8:9], s[36:37], v[78:79]
	s_delay_alu instid0(VALU_DEP_2) | instskip(SKIP_1) | instid1(VALU_DEP_3)
	v_add_f64_e32 v[24:25], v[76:77], v[24:25]
	v_mul_f64_e32 v[76:77], s[48:49], v[10:11]
	v_add_f64_e32 v[26:27], v[196:197], v[26:27]
	s_delay_alu instid0(VALU_DEP_2) | instskip(SKIP_1) | instid1(VALU_DEP_2)
	v_fma_f64 v[78:79], v[4:5], s[18:19], v[76:77]
	v_fma_f64 v[76:77], v[4:5], s[18:19], -v[76:77]
	v_add_f64_e32 v[30:31], v[78:79], v[30:31]
	v_mul_f64_e32 v[78:79], s[18:19], v[6:7]
	s_delay_alu instid0(VALU_DEP_3) | instskip(NEXT) | instid1(VALU_DEP_2)
	v_add_f64_e32 v[28:29], v[76:77], v[28:29]
	v_fma_f64 v[76:77], v[8:9], s[48:49], v[78:79]
	v_fma_f64 v[196:197], v[8:9], s[20:21], v[78:79]
	s_delay_alu instid0(VALU_DEP_2) | instskip(SKIP_1) | instid1(VALU_DEP_3)
	v_add_f64_e32 v[32:33], v[76:77], v[32:33]
	v_mul_f64_e32 v[76:77], s[16:17], v[10:11]
	v_add_f64_e32 v[36:37], v[196:197], v[36:37]
	s_delay_alu instid0(VALU_DEP_2) | instskip(SKIP_1) | instid1(VALU_DEP_2)
	v_fma_f64 v[78:79], v[4:5], s[14:15], v[76:77]
	v_fma_f64 v[76:77], v[4:5], s[14:15], -v[76:77]
	v_add_f64_e32 v[39:40], v[78:79], v[39:40]
	v_mul_f64_e32 v[78:79], s[14:15], v[6:7]
	s_delay_alu instid0(VALU_DEP_3) | instskip(NEXT) | instid1(VALU_DEP_2)
	v_add_f64_e32 v[34:35], v[76:77], v[34:35]
	v_fma_f64 v[76:77], v[8:9], s[16:17], v[78:79]
	v_fma_f64 v[196:197], v[8:9], s[34:35], v[78:79]
	s_delay_alu instid0(VALU_DEP_2) | instskip(SKIP_1) | instid1(VALU_DEP_3)
	v_add_f64_e32 v[42:43], v[76:77], v[42:43]
	v_mul_f64_e32 v[76:77], s[40:41], v[10:11]
	v_add_f64_e32 v[44:45], v[196:197], v[44:45]
	s_delay_alu instid0(VALU_DEP_2) | instskip(SKIP_1) | instid1(VALU_DEP_2)
	v_fma_f64 v[78:79], v[4:5], s[44:45], v[76:77]
	v_fma_f64 v[76:77], v[4:5], s[44:45], -v[76:77]
	v_add_f64_e32 v[48:49], v[78:79], v[48:49]
	v_mul_f64_e32 v[78:79], s[44:45], v[6:7]
	s_delay_alu instid0(VALU_DEP_3) | instskip(NEXT) | instid1(VALU_DEP_2)
	v_add_f64_e32 v[46:47], v[76:77], v[46:47]
	v_fma_f64 v[76:77], v[8:9], s[40:41], v[78:79]
	v_fma_f64 v[196:197], v[8:9], s[52:53], v[78:79]
	s_delay_alu instid0(VALU_DEP_2) | instskip(SKIP_1) | instid1(VALU_DEP_3)
	v_add_f64_e32 v[50:51], v[76:77], v[50:51]
	v_mul_f64_e32 v[76:77], s[50:51], v[10:11]
	v_add_f64_e32 v[52:53], v[196:197], v[52:53]
	s_delay_alu instid0(VALU_DEP_2) | instskip(SKIP_1) | instid1(VALU_DEP_2)
	v_fma_f64 v[78:79], v[4:5], s[2:3], v[76:77]
	v_fma_f64 v[76:77], v[4:5], s[2:3], -v[76:77]
	v_add_f64_e32 v[56:57], v[78:79], v[56:57]
	v_mul_f64_e32 v[78:79], s[2:3], v[6:7]
	s_delay_alu instid0(VALU_DEP_3) | instskip(NEXT) | instid1(VALU_DEP_2)
	v_add_f64_e32 v[54:55], v[76:77], v[54:55]
	v_fma_f64 v[76:77], v[8:9], s[50:51], v[78:79]
	v_fma_f64 v[196:197], v[8:9], s[8:9], v[78:79]
	s_delay_alu instid0(VALU_DEP_2) | instskip(SKIP_2) | instid1(VALU_DEP_4)
	v_add_f64_e32 v[58:59], v[76:77], v[58:59]
	v_mul_f64_e32 v[76:77], s[28:29], v[10:11]
	v_mul_f64_e32 v[10:11], s[22:23], v[10:11]
	v_add_f64_e32 v[60:61], v[196:197], v[60:61]
	s_delay_alu instid0(VALU_DEP_3) | instskip(SKIP_1) | instid1(VALU_DEP_2)
	v_fma_f64 v[78:79], v[4:5], s[26:27], v[76:77]
	v_fma_f64 v[76:77], v[4:5], s[26:27], -v[76:77]
	v_add_f64_e32 v[66:67], v[78:79], v[66:67]
	v_mul_f64_e32 v[78:79], s[26:27], v[6:7]
	s_delay_alu instid0(VALU_DEP_3) | instskip(SKIP_1) | instid1(VALU_DEP_3)
	v_add_f64_e32 v[63:64], v[76:77], v[63:64]
	v_mul_f64_e32 v[6:7], s[24:25], v[6:7]
	v_fma_f64 v[76:77], v[8:9], s[28:29], v[78:79]
	v_fma_f64 v[196:197], v[8:9], s[46:47], v[78:79]
	s_delay_alu instid0(VALU_DEP_2) | instskip(SKIP_4) | instid1(VALU_DEP_4)
	v_add_f64_e32 v[68:69], v[76:77], v[68:69]
	v_fma_f64 v[76:77], v[4:5], s[24:25], v[10:11]
	v_fma_f64 v[4:5], v[4:5], s[24:25], -v[10:11]
	v_add_f64_e64 v[10:11], v[230:231], -v[234:235]
	v_add_f64_e32 v[70:71], v[196:197], v[70:71]
	v_add_f64_e32 v[72:73], v[76:77], v[72:73]
	v_fma_f64 v[76:77], v[8:9], s[54:55], v[6:7]
	v_add_f64_e32 v[0:1], v[4:5], v[0:1]
	v_fma_f64 v[4:5], v[8:9], s[22:23], v[6:7]
	v_add_f64_e32 v[6:7], v[230:231], v[234:235]
	v_add_f64_e64 v[8:9], v[228:229], -v[232:233]
	v_add_f64_e32 v[74:75], v[76:77], v[74:75]
	v_mul_f64_e32 v[76:77], s[22:23], v[10:11]
	v_add_f64_e32 v[2:3], v[4:5], v[2:3]
	v_add_f64_e32 v[4:5], v[228:229], v[232:233]
	s_delay_alu instid0(VALU_DEP_1) | instskip(SKIP_1) | instid1(VALU_DEP_2)
	v_fma_f64 v[78:79], v[4:5], s[24:25], v[76:77]
	v_fma_f64 v[76:77], v[4:5], s[24:25], -v[76:77]
	v_add_f64_e32 v[14:15], v[78:79], v[14:15]
	v_mul_f64_e32 v[78:79], s[24:25], v[6:7]
	s_delay_alu instid0(VALU_DEP_3) | instskip(NEXT) | instid1(VALU_DEP_2)
	v_add_f64_e32 v[12:13], v[76:77], v[12:13]
	v_fma_f64 v[76:77], v[8:9], s[22:23], v[78:79]
	v_fma_f64 v[196:197], v[8:9], s[54:55], v[78:79]
	s_delay_alu instid0(VALU_DEP_2) | instskip(SKIP_1) | instid1(VALU_DEP_3)
	v_add_f64_e32 v[16:17], v[76:77], v[16:17]
	v_mul_f64_e32 v[76:77], s[30:31], v[10:11]
	v_add_f64_e32 v[20:21], v[196:197], v[20:21]
	s_delay_alu instid0(VALU_DEP_2) | instskip(SKIP_1) | instid1(VALU_DEP_2)
	v_fma_f64 v[78:79], v[4:5], s[12:13], v[76:77]
	v_fma_f64 v[76:77], v[4:5], s[12:13], -v[76:77]
	v_add_f64_e32 v[22:23], v[78:79], v[22:23]
	v_mul_f64_e32 v[78:79], s[12:13], v[6:7]
	s_delay_alu instid0(VALU_DEP_3) | instskip(NEXT) | instid1(VALU_DEP_2)
	v_add_f64_e32 v[18:19], v[76:77], v[18:19]
	v_fma_f64 v[76:77], v[8:9], s[30:31], v[78:79]
	v_fma_f64 v[196:197], v[8:9], s[10:11], v[78:79]
	s_delay_alu instid0(VALU_DEP_2) | instskip(SKIP_1) | instid1(VALU_DEP_3)
	v_add_f64_e32 v[76:77], v[76:77], v[24:25]
	v_mul_f64_e32 v[24:25], s[28:29], v[10:11]
	v_add_f64_e32 v[26:27], v[196:197], v[26:27]
	s_delay_alu instid0(VALU_DEP_2) | instskip(SKIP_1) | instid1(VALU_DEP_2)
	;; [unrolled: 13-line block ×5, first 2 shown]
	v_fma_f64 v[78:79], v[4:5], s[18:19], v[24:25]
	v_fma_f64 v[24:25], v[4:5], s[18:19], -v[24:25]
	v_add_f64_e32 v[56:57], v[78:79], v[56:57]
	v_mul_f64_e32 v[78:79], s[18:19], v[6:7]
	s_delay_alu instid0(VALU_DEP_3) | instskip(NEXT) | instid1(VALU_DEP_2)
	v_add_f64_e32 v[54:55], v[24:25], v[54:55]
	v_fma_f64 v[24:25], v[8:9], s[20:21], v[78:79]
	v_fma_f64 v[196:197], v[8:9], s[48:49], v[78:79]
	s_delay_alu instid0(VALU_DEP_2) | instskip(SKIP_2) | instid1(VALU_DEP_4)
	v_add_f64_e32 v[58:59], v[24:25], v[58:59]
	v_mul_f64_e32 v[24:25], s[40:41], v[10:11]
	v_mul_f64_e32 v[10:11], s[34:35], v[10:11]
	v_add_f64_e32 v[60:61], v[196:197], v[60:61]
	s_delay_alu instid0(VALU_DEP_3) | instskip(SKIP_1) | instid1(VALU_DEP_2)
	v_fma_f64 v[78:79], v[4:5], s[44:45], v[24:25]
	v_fma_f64 v[24:25], v[4:5], s[44:45], -v[24:25]
	v_add_f64_e32 v[66:67], v[78:79], v[66:67]
	v_mul_f64_e32 v[78:79], s[44:45], v[6:7]
	s_delay_alu instid0(VALU_DEP_3) | instskip(SKIP_1) | instid1(VALU_DEP_3)
	v_add_f64_e32 v[63:64], v[24:25], v[63:64]
	v_mul_f64_e32 v[6:7], s[14:15], v[6:7]
	v_fma_f64 v[24:25], v[8:9], s[40:41], v[78:79]
	v_fma_f64 v[196:197], v[8:9], s[52:53], v[78:79]
	s_delay_alu instid0(VALU_DEP_2) | instskip(SKIP_2) | instid1(VALU_DEP_4)
	v_add_f64_e32 v[68:69], v[24:25], v[68:69]
	v_fma_f64 v[24:25], v[4:5], s[14:15], v[10:11]
	v_fma_f64 v[4:5], v[4:5], s[14:15], -v[10:11]
	v_add_f64_e32 v[70:71], v[196:197], v[70:71]
	s_delay_alu instid0(VALU_DEP_3) | instskip(SKIP_1) | instid1(VALU_DEP_4)
	v_add_f64_e32 v[72:73], v[24:25], v[72:73]
	v_fma_f64 v[24:25], v[8:9], s[16:17], v[6:7]
	v_add_f64_e32 v[78:79], v[4:5], v[0:1]
	v_fma_f64 v[0:1], v[8:9], s[34:35], v[6:7]
	v_add_f64_e64 v[6:7], v[222:223], -v[226:227]
	v_add_f64_e32 v[4:5], v[222:223], v[226:227]
	v_add_f64_e32 v[74:75], v[24:25], v[74:75]
	s_delay_alu instid0(VALU_DEP_4) | instskip(SKIP_2) | instid1(VALU_DEP_1)
	v_add_f64_e32 v[196:197], v[0:1], v[2:3]
	v_add_f64_e32 v[2:3], v[220:221], v[224:225]
	v_mul_f64_e32 v[0:1], s[36:37], v[6:7]
	v_fma_f64 v[8:9], v[2:3], s[38:39], v[0:1]
	v_fma_f64 v[0:1], v[2:3], s[38:39], -v[0:1]
	s_delay_alu instid0(VALU_DEP_2) | instskip(SKIP_1) | instid1(VALU_DEP_3)
	v_add_f64_e32 v[220:221], v[8:9], v[14:15]
	v_mul_f64_e32 v[8:9], s[38:39], v[4:5]
	v_add_f64_e32 v[224:225], v[0:1], v[12:13]
	s_delay_alu instid0(VALU_DEP_2) | instskip(SKIP_1) | instid1(VALU_DEP_2)
	v_fma_f64 v[0:1], v[198:199], s[36:37], v[8:9]
	v_fma_f64 v[10:11], v[198:199], s[42:43], v[8:9]
	v_add_f64_e32 v[24:25], v[0:1], v[16:17]
	v_mul_f64_e32 v[0:1], s[34:35], v[6:7]
	s_delay_alu instid0(VALU_DEP_3) | instskip(NEXT) | instid1(VALU_DEP_2)
	v_add_f64_e32 v[222:223], v[10:11], v[20:21]
	v_fma_f64 v[8:9], v[2:3], s[14:15], v[0:1]
	v_fma_f64 v[0:1], v[2:3], s[14:15], -v[0:1]
	s_delay_alu instid0(VALU_DEP_2) | instskip(SKIP_1) | instid1(VALU_DEP_3)
	v_add_f64_e32 v[22:23], v[8:9], v[22:23]
	v_mul_f64_e32 v[8:9], s[14:15], v[4:5]
	v_add_f64_e32 v[20:21], v[0:1], v[18:19]
	s_delay_alu instid0(VALU_DEP_2) | instskip(SKIP_2) | instid1(VALU_DEP_3)
	v_fma_f64 v[10:11], v[198:199], s[16:17], v[8:9]
	v_fma_f64 v[0:1], v[198:199], s[34:35], v[8:9]
	v_mul_f64_e32 v[8:9], s[8:9], v[6:7]
	v_add_f64_e32 v[226:227], v[10:11], v[26:27]
	v_mul_f64_e32 v[26:27], s[18:19], v[4:5]
	s_delay_alu instid0(VALU_DEP_3) | instskip(SKIP_2) | instid1(VALU_DEP_3)
	v_fma_f64 v[10:11], v[2:3], s[2:3], v[8:9]
	v_fma_f64 v[8:9], v[2:3], s[2:3], -v[8:9]
	v_add_f64_e32 v[0:1], v[0:1], v[76:77]
	v_add_f64_e32 v[232:233], v[10:11], v[30:31]
	v_mul_f64_e32 v[10:11], s[2:3], v[4:5]
	s_delay_alu instid0(VALU_DEP_4) | instskip(SKIP_2) | instid1(VALU_DEP_4)
	v_add_f64_e32 v[228:229], v[8:9], v[28:29]
	v_mul_f64_e32 v[28:29], s[12:13], v[4:5]
	v_add_f64_e32 v[30:31], v[214:215], v[218:219]
	v_fma_f64 v[8:9], v[198:199], s[8:9], v[10:11]
	v_fma_f64 v[12:13], v[198:199], s[50:51], v[10:11]
	s_delay_alu instid0(VALU_DEP_2) | instskip(SKIP_1) | instid1(VALU_DEP_3)
	v_add_f64_e32 v[230:231], v[8:9], v[32:33]
	v_mul_f64_e32 v[8:9], s[54:55], v[6:7]
	v_add_f64_e32 v[234:235], v[12:13], v[36:37]
	v_add_f64_e64 v[32:33], v[214:215], -v[218:219]
	s_delay_alu instid0(VALU_DEP_3) | instskip(SKIP_1) | instid1(VALU_DEP_2)
	v_fma_f64 v[10:11], v[2:3], s[24:25], v[8:9]
	v_fma_f64 v[8:9], v[2:3], s[24:25], -v[8:9]
	v_add_f64_e32 v[240:241], v[10:11], v[39:40]
	v_mul_f64_e32 v[10:11], s[24:25], v[4:5]
	s_delay_alu instid0(VALU_DEP_3) | instskip(SKIP_1) | instid1(VALU_DEP_3)
	v_add_f64_e32 v[236:237], v[8:9], v[34:35]
	v_mul_f64_e32 v[34:35], s[40:41], v[32:33]
	v_fma_f64 v[8:9], v[198:199], s[54:55], v[10:11]
	v_fma_f64 v[12:13], v[198:199], s[22:23], v[10:11]
	s_delay_alu instid0(VALU_DEP_2) | instskip(SKIP_1) | instid1(VALU_DEP_3)
	v_add_f64_e32 v[238:239], v[8:9], v[42:43]
	v_mul_f64_e32 v[8:9], s[28:29], v[6:7]
	v_add_f64_e32 v[242:243], v[12:13], v[44:45]
	s_delay_alu instid0(VALU_DEP_2) | instskip(SKIP_1) | instid1(VALU_DEP_2)
	v_fma_f64 v[10:11], v[2:3], s[26:27], v[8:9]
	v_fma_f64 v[8:9], v[2:3], s[26:27], -v[8:9]
	v_add_f64_e32 v[248:249], v[10:11], v[48:49]
	v_mul_f64_e32 v[10:11], s[26:27], v[4:5]
	s_delay_alu instid0(VALU_DEP_3) | instskip(NEXT) | instid1(VALU_DEP_2)
	v_add_f64_e32 v[244:245], v[8:9], v[46:47]
	v_fma_f64 v[8:9], v[198:199], s[28:29], v[10:11]
	v_fma_f64 v[12:13], v[198:199], s[46:47], v[10:11]
	s_delay_alu instid0(VALU_DEP_2) | instskip(SKIP_1) | instid1(VALU_DEP_3)
	v_add_f64_e32 v[246:247], v[8:9], v[50:51]
	v_mul_f64_e32 v[8:9], s[40:41], v[6:7]
	v_add_f64_e32 v[250:251], v[12:13], v[52:53]
	s_delay_alu instid0(VALU_DEP_2) | instskip(SKIP_1) | instid1(VALU_DEP_2)
	v_fma_f64 v[10:11], v[2:3], s[44:45], v[8:9]
	v_fma_f64 v[8:9], v[2:3], s[44:45], -v[8:9]
	v_add_f64_e32 v[252:253], v[10:11], v[56:57]
	v_mul_f64_e32 v[10:11], s[44:45], v[4:5]
	s_delay_alu instid0(VALU_DEP_3) | instskip(SKIP_1) | instid1(VALU_DEP_3)
	v_add_f64_e32 v[18:19], v[8:9], v[54:55]
	v_fma_f64 v[4:5], v[198:199], s[30:31], v[28:29]
	v_fma_f64 v[8:9], v[198:199], s[40:41], v[10:11]
	;; [unrolled: 1-line block ×3, first 2 shown]
	s_delay_alu instid0(VALU_DEP_3) | instskip(NEXT) | instid1(VALU_DEP_3)
	v_add_f64_e32 v[4:5], v[4:5], v[74:75]
	v_add_f64_e32 v[16:17], v[8:9], v[58:59]
	v_mul_f64_e32 v[8:9], s[48:49], v[6:7]
	s_delay_alu instid0(VALU_DEP_4) | instskip(NEXT) | instid1(VALU_DEP_2)
	v_add_f64_e32 v[254:255], v[12:13], v[60:61]
	v_fma_f64 v[10:11], v[2:3], s[18:19], v[8:9]
	v_fma_f64 v[8:9], v[2:3], s[18:19], -v[8:9]
	s_delay_alu instid0(VALU_DEP_2) | instskip(SKIP_1) | instid1(VALU_DEP_1)
	v_add_f64_e32 v[12:13], v[10:11], v[66:67]
	v_fma_f64 v[10:11], v[198:199], s[20:21], v[26:27]
	v_add_f64_e32 v[14:15], v[10:11], v[70:71]
	s_delay_alu instid0(VALU_DEP_4) | instskip(SKIP_2) | instid1(VALU_DEP_2)
	v_add_f64_e32 v[10:11], v[8:9], v[63:64]
	v_fma_f64 v[8:9], v[198:199], s[48:49], v[26:27]
	v_mul_f64_e32 v[26:27], s[10:11], v[6:7]
	v_add_f64_e32 v[8:9], v[8:9], v[68:69]
	s_delay_alu instid0(VALU_DEP_2) | instskip(SKIP_3) | instid1(VALU_DEP_4)
	v_fma_f64 v[6:7], v[2:3], s[12:13], v[26:27]
	v_fma_f64 v[2:3], v[2:3], s[12:13], -v[26:27]
	v_fma_f64 v[26:27], v[198:199], s[10:11], v[28:29]
	v_add_f64_e32 v[28:29], v[212:213], v[216:217]
	v_add_f64_e32 v[6:7], v[6:7], v[72:73]
	s_delay_alu instid0(VALU_DEP_4) | instskip(NEXT) | instid1(VALU_DEP_4)
	v_add_f64_e32 v[2:3], v[2:3], v[78:79]
	v_add_f64_e32 v[46:47], v[26:27], v[196:197]
	s_delay_alu instid0(VALU_DEP_4) | instskip(SKIP_2) | instid1(VALU_DEP_3)
	v_fma_f64 v[36:37], v[28:29], s[44:45], v[34:35]
	v_add_f64_e64 v[26:27], v[212:213], -v[216:217]
	v_fma_f64 v[34:35], v[28:29], s[44:45], -v[34:35]
	v_add_f64_e32 v[220:221], v[36:37], v[220:221]
	v_mul_f64_e32 v[36:37], s[44:45], v[30:31]
	s_delay_alu instid0(VALU_DEP_3) | instskip(NEXT) | instid1(VALU_DEP_2)
	v_add_f64_e32 v[212:213], v[34:35], v[224:225]
	v_fma_f64 v[34:35], v[26:27], s[40:41], v[36:37]
	v_fma_f64 v[39:40], v[26:27], s[52:53], v[36:37]
	s_delay_alu instid0(VALU_DEP_2) | instskip(SKIP_1) | instid1(VALU_DEP_3)
	v_add_f64_e32 v[214:215], v[34:35], v[24:25]
	v_mul_f64_e32 v[24:25], s[46:47], v[32:33]
	v_add_f64_e32 v[222:223], v[39:40], v[222:223]
	s_delay_alu instid0(VALU_DEP_2) | instskip(SKIP_1) | instid1(VALU_DEP_2)
	v_fma_f64 v[34:35], v[28:29], s[26:27], v[24:25]
	v_fma_f64 v[24:25], v[28:29], s[26:27], -v[24:25]
	v_add_f64_e32 v[224:225], v[34:35], v[22:23]
	v_mul_f64_e32 v[22:23], s[26:27], v[30:31]
	s_delay_alu instid0(VALU_DEP_3) | instskip(SKIP_1) | instid1(VALU_DEP_3)
	v_add_f64_e32 v[216:217], v[24:25], v[20:21]
	v_mul_f64_e32 v[24:25], s[14:15], v[30:31]
	v_fma_f64 v[20:21], v[26:27], s[46:47], v[22:23]
	v_fma_f64 v[34:35], v[26:27], s[28:29], v[22:23]
	s_delay_alu instid0(VALU_DEP_2) | instskip(SKIP_1) | instid1(VALU_DEP_3)
	v_add_f64_e32 v[218:219], v[20:21], v[0:1]
	v_mul_f64_e32 v[0:1], s[36:37], v[32:33]
	v_add_f64_e32 v[226:227], v[34:35], v[226:227]
	s_delay_alu instid0(VALU_DEP_2) | instskip(SKIP_1) | instid1(VALU_DEP_2)
	v_fma_f64 v[20:21], v[28:29], s[38:39], v[0:1]
	v_fma_f64 v[0:1], v[28:29], s[38:39], -v[0:1]
	v_add_f64_e32 v[232:233], v[20:21], v[232:233]
	v_mul_f64_e32 v[20:21], s[38:39], v[30:31]
	s_delay_alu instid0(VALU_DEP_3) | instskip(NEXT) | instid1(VALU_DEP_2)
	v_add_f64_e32 v[228:229], v[0:1], v[228:229]
	v_fma_f64 v[0:1], v[26:27], s[36:37], v[20:21]
	v_fma_f64 v[22:23], v[26:27], s[42:43], v[20:21]
	s_delay_alu instid0(VALU_DEP_2) | instskip(SKIP_1) | instid1(VALU_DEP_3)
	v_add_f64_e32 v[230:231], v[0:1], v[230:231]
	v_mul_f64_e32 v[0:1], s[48:49], v[32:33]
	v_add_f64_e32 v[234:235], v[22:23], v[234:235]
	s_delay_alu instid0(VALU_DEP_2) | instskip(SKIP_1) | instid1(VALU_DEP_2)
	v_fma_f64 v[20:21], v[28:29], s[18:19], v[0:1]
	v_fma_f64 v[0:1], v[28:29], s[18:19], -v[0:1]
	v_add_f64_e32 v[240:241], v[20:21], v[240:241]
	v_mul_f64_e32 v[20:21], s[18:19], v[30:31]
	s_delay_alu instid0(VALU_DEP_3) | instskip(NEXT) | instid1(VALU_DEP_2)
	v_add_f64_e32 v[236:237], v[0:1], v[236:237]
	;; [unrolled: 13-line block ×3, first 2 shown]
	v_fma_f64 v[0:1], v[26:27], s[22:23], v[20:21]
	v_fma_f64 v[22:23], v[26:27], s[54:55], v[20:21]
	s_delay_alu instid0(VALU_DEP_2) | instskip(SKIP_1) | instid1(VALU_DEP_3)
	v_add_f64_e32 v[246:247], v[0:1], v[246:247]
	v_mul_f64_e32 v[0:1], s[34:35], v[32:33]
	v_add_f64_e32 v[250:251], v[22:23], v[250:251]
	v_fma_f64 v[22:23], v[26:27], s[16:17], v[24:25]
	s_delay_alu instid0(VALU_DEP_3) | instskip(SKIP_1) | instid1(VALU_DEP_3)
	v_fma_f64 v[20:21], v[28:29], s[14:15], v[0:1]
	v_fma_f64 v[0:1], v[28:29], s[14:15], -v[0:1]
	v_add_f64_e32 v[22:23], v[22:23], v[254:255]
	s_delay_alu instid0(VALU_DEP_3) | instskip(NEXT) | instid1(VALU_DEP_3)
	v_add_f64_e32 v[20:21], v[20:21], v[252:253]
	v_add_f64_e32 v[42:43], v[0:1], v[18:19]
	v_fma_f64 v[0:1], v[26:27], s[34:35], v[24:25]
	v_mul_f64_e32 v[18:19], s[12:13], v[30:31]
	s_delay_alu instid0(VALU_DEP_2) | instskip(SKIP_1) | instid1(VALU_DEP_1)
	v_add_f64_e32 v[44:45], v[0:1], v[16:17]
	v_mul_f64_e32 v[0:1], s[10:11], v[32:33]
	v_fma_f64 v[16:17], v[28:29], s[12:13], v[0:1]
	v_fma_f64 v[0:1], v[28:29], s[12:13], -v[0:1]
	s_delay_alu instid0(VALU_DEP_2) | instskip(SKIP_1) | instid1(VALU_DEP_1)
	v_add_f64_e32 v[12:13], v[16:17], v[12:13]
	v_fma_f64 v[16:17], v[26:27], s[30:31], v[18:19]
	v_add_f64_e32 v[14:15], v[16:17], v[14:15]
	s_delay_alu instid0(VALU_DEP_4) | instskip(SKIP_2) | instid1(VALU_DEP_2)
	v_add_f64_e32 v[16:17], v[0:1], v[10:11]
	v_fma_f64 v[0:1], v[26:27], s[10:11], v[18:19]
	v_mul_f64_e32 v[10:11], s[2:3], v[30:31]
	v_add_f64_e32 v[18:19], v[0:1], v[8:9]
	v_mul_f64_e32 v[0:1], s[50:51], v[32:33]
	s_delay_alu instid0(VALU_DEP_1) | instskip(SKIP_1) | instid1(VALU_DEP_2)
	v_fma_f64 v[8:9], v[28:29], s[2:3], v[0:1]
	v_fma_f64 v[0:1], v[28:29], s[2:3], -v[0:1]
	v_add_f64_e32 v[6:7], v[8:9], v[6:7]
	v_fma_f64 v[8:9], v[26:27], s[8:9], v[10:11]
	s_delay_alu instid0(VALU_DEP_3) | instskip(SKIP_1) | instid1(VALU_DEP_3)
	v_add_f64_e32 v[0:1], v[0:1], v[2:3]
	v_fma_f64 v[2:3], v[26:27], s[50:51], v[10:11]
	v_add_f64_e32 v[8:9], v[8:9], v[4:5]
	s_delay_alu instid0(VALU_DEP_2)
	v_add_f64_e32 v[2:3], v[2:3], v[46:47]
	ds_store_b128 v38, v[208:211]
	ds_store_b128 v38, v[220:223] offset:16
	ds_store_b128 v38, v[224:227] offset:32
	;; [unrolled: 1-line block ×16, first 2 shown]
	global_wb scope:SCOPE_SE
	s_wait_dscnt 0x0
	s_barrier_signal -1
	s_barrier_wait -1
	global_inv scope:SCOPE_SE
	ds_load_b128 v[224:227], v62
	ds_load_b128 v[16:19], v62 offset:4624
	ds_load_b128 v[12:15], v62 offset:9248
	ds_load_b128 v[0:3], v62 offset:13872
	ds_load_b128 v[8:11], v62 offset:18496
	ds_load_b128 v[220:223], v62 offset:1360
	ds_load_b128 v[4:7], v62 offset:5984
	ds_load_b128 v[252:255], v62 offset:10608
	ds_load_b128 v[248:251], v62 offset:15232
	ds_load_b128 v[244:247], v62 offset:19856
	ds_load_b128 v[208:211], v62 offset:2720
	ds_load_b128 v[240:243], v62 offset:7344
	ds_load_b128 v[236:239], v62 offset:11968
	ds_load_b128 v[232:235], v62 offset:16592
	ds_load_b128 v[228:231], v62 offset:21216
	s_and_saveexec_b32 s2, vcc_lo
	s_cbranch_execz .LBB0_7
; %bb.6:
	ds_load_b128 v[216:219], v62 offset:4080
	ds_load_b128 v[212:215], v62 offset:8704
	;; [unrolled: 1-line block ×3, first 2 shown]
	s_wait_dscnt 0x0
	scratch_store_b128 off, v[20:23], off   ; 16-byte Folded Spill
	ds_load_b128 v[20:23], v62 offset:17952
	s_wait_dscnt 0x0
	scratch_store_b128 off, v[20:23], off offset:16 ; 16-byte Folded Spill
	ds_load_b128 v[20:23], v62 offset:22576
	s_wait_dscnt 0x0
	scratch_store_b128 off, v[20:23], off offset:32 ; 16-byte Folded Spill
.LBB0_7:
	s_wait_alu 0xfffe
	s_or_b32 exec_lo, exec_lo, s2
	s_wait_dscnt 0xd
	v_mul_f64_e32 v[20:21], v[150:151], v[18:19]
	s_mov_b32 s10, 0x134454ff
	s_mov_b32 s11, 0xbfee6f0e
	;; [unrolled: 1-line block ×3, first 2 shown]
	s_wait_alu 0xfffe
	s_mov_b32 s12, s10
	s_mov_b32 s2, 0x4755a5e
	;; [unrolled: 1-line block ×4, first 2 shown]
	s_wait_alu 0xfffe
	s_mov_b32 s8, s2
	s_mov_b32 s14, 0x372fe950
	;; [unrolled: 1-line block ×3, first 2 shown]
	global_wb scope:SCOPE_SE
	s_wait_storecnt_dscnt 0x0
	s_barrier_signal -1
	s_barrier_wait -1
	global_inv scope:SCOPE_SE
	v_fma_f64 v[36:37], v[148:149], v[16:17], v[20:21]
	v_mul_f64_e32 v[16:17], v[150:151], v[16:17]
	s_delay_alu instid0(VALU_DEP_2) | instskip(NEXT) | instid1(VALU_DEP_2)
	v_add_f64_e32 v[72:73], v[224:225], v[36:37]
	v_fma_f64 v[38:39], v[148:149], v[18:19], -v[16:17]
	v_mul_f64_e32 v[16:17], v[158:159], v[14:15]
	s_delay_alu instid0(VALU_DEP_2) | instskip(NEXT) | instid1(VALU_DEP_2)
	v_add_f64_e32 v[74:75], v[226:227], v[38:39]
	v_fma_f64 v[46:47], v[156:157], v[12:13], v[16:17]
	v_mul_f64_e32 v[12:13], v[158:159], v[12:13]
	s_delay_alu instid0(VALU_DEP_2) | instskip(NEXT) | instid1(VALU_DEP_2)
	v_add_f64_e64 v[32:33], v[46:47], -v[36:37]
	v_fma_f64 v[48:49], v[156:157], v[14:15], -v[12:13]
	v_mul_f64_e32 v[12:13], v[162:163], v[10:11]
	v_mul_f64_e32 v[14:15], v[194:195], v[228:229]
	s_delay_alu instid0(VALU_DEP_2) | instskip(SKIP_2) | instid1(VALU_DEP_4)
	v_fma_f64 v[50:51], v[160:161], v[8:9], v[12:13]
	v_mul_f64_e32 v[8:9], v[162:163], v[8:9]
	v_mul_f64_e32 v[12:13], v[194:195], v[230:231]
	v_fma_f64 v[14:15], v[192:193], v[230:231], -v[14:15]
	s_delay_alu instid0(VALU_DEP_4) | instskip(NEXT) | instid1(VALU_DEP_4)
	v_add_f64_e64 v[70:71], v[36:37], -v[50:51]
	v_fma_f64 v[52:53], v[160:161], v[10:11], -v[8:9]
	v_mul_f64_e32 v[8:9], v[154:155], v[2:3]
	v_fma_f64 v[12:13], v[192:193], v[228:229], v[12:13]
	s_delay_alu instid0(VALU_DEP_3) | instskip(NEXT) | instid1(VALU_DEP_3)
	v_add_f64_e64 v[66:67], v[38:39], -v[52:53]
	v_fma_f64 v[54:55], v[152:153], v[0:1], v[8:9]
	v_mul_f64_e32 v[0:1], v[154:155], v[0:1]
	s_delay_alu instid0(VALU_DEP_2) | instskip(NEXT) | instid1(VALU_DEP_2)
	v_add_f64_e64 v[34:35], v[54:55], -v[50:51]
	v_fma_f64 v[56:57], v[152:153], v[2:3], -v[0:1]
	v_add_f64_e64 v[68:69], v[46:47], -v[54:55]
	v_mul_f64_e32 v[0:1], v[166:167], v[6:7]
	v_mul_f64_e32 v[2:3], v[186:187], v[240:241]
	v_add_f64_e32 v[42:43], v[32:33], v[34:35]
	v_add_f64_e64 v[32:33], v[48:49], -v[38:39]
	v_add_f64_e64 v[34:35], v[56:57], -v[52:53]
	;; [unrolled: 1-line block ×3, first 2 shown]
	v_fma_f64 v[16:17], v[164:165], v[4:5], v[0:1]
	v_mul_f64_e32 v[0:1], v[166:167], v[4:5]
	v_mul_f64_e32 v[4:5], v[182:183], v[238:239]
	v_fma_f64 v[2:3], v[184:185], v[242:243], -v[2:3]
	v_add_f64_e32 v[44:45], v[32:33], v[34:35]
	v_add_f64_e32 v[32:33], v[36:37], v[50:51]
	v_add_f64_e64 v[36:37], v[36:37], -v[46:47]
	v_fma_f64 v[18:19], v[164:165], v[6:7], -v[0:1]
	v_mul_f64_e32 v[0:1], v[170:171], v[254:255]
	v_fma_f64 v[6:7], v[180:181], v[236:237], v[4:5]
	v_mul_f64_e32 v[4:5], v[182:183], v[236:237]
	v_fma_f64 v[58:59], v[32:33], -0.5, v[224:225]
	v_add_f64_e32 v[32:33], v[38:39], v[52:53]
	v_add_f64_e64 v[38:39], v[38:39], -v[48:49]
	v_fma_f64 v[22:23], v[168:169], v[252:253], v[0:1]
	v_mul_f64_e32 v[0:1], v[170:171], v[252:253]
	v_fma_f64 v[10:11], v[180:181], v[238:239], -v[4:5]
	v_mul_f64_e32 v[4:5], v[190:191], v[234:235]
	v_fma_f64 v[60:61], v[32:33], -0.5, v[226:227]
	v_fma_f64 v[32:33], v[63:64], s[12:13], v[58:59]
	v_fma_f64 v[58:59], v[63:64], s[10:11], v[58:59]
	v_fma_f64 v[26:27], v[168:169], v[254:255], -v[0:1]
	v_mul_f64_e32 v[0:1], v[174:175], v[250:251]
	v_fma_f64 v[8:9], v[188:189], v[232:233], v[4:5]
	v_mul_f64_e32 v[4:5], v[190:191], v[232:233]
	v_fma_f64 v[34:35], v[68:69], s[10:11], v[60:61]
	v_fma_f64 v[32:33], v[66:67], s[2:3], v[32:33]
	;; [unrolled: 1-line block ×3, first 2 shown]
	s_wait_alu 0xfffe
	v_fma_f64 v[58:59], v[66:67], s[8:9], v[58:59]
	v_fma_f64 v[24:25], v[172:173], v[248:249], v[0:1]
	v_mul_f64_e32 v[0:1], v[174:175], v[248:249]
	v_fma_f64 v[4:5], v[188:189], v[234:235], -v[4:5]
	v_fma_f64 v[34:35], v[70:71], s[8:9], v[34:35]
	v_fma_f64 v[32:33], v[42:43], s[14:15], v[32:33]
	;; [unrolled: 1-line block ×4, first 2 shown]
	v_add_f64_e32 v[58:59], v[46:47], v[54:55]
	v_add_f64_e32 v[46:47], v[72:73], v[46:47]
	;; [unrolled: 1-line block ×3, first 2 shown]
	v_fma_f64 v[20:21], v[172:173], v[250:251], -v[0:1]
	v_mul_f64_e32 v[0:1], v[178:179], v[246:247]
	v_fma_f64 v[34:35], v[44:45], s[14:15], v[34:35]
	v_fma_f64 v[44:45], v[44:45], s[14:15], v[60:61]
	v_add_f64_e32 v[60:61], v[48:49], v[56:57]
	v_fma_f64 v[58:59], v[58:59], -0.5, v[224:225]
	v_add_f64_e32 v[46:47], v[46:47], v[54:55]
	v_add_f64_e32 v[48:49], v[72:73], v[56:57]
	v_add_f64_e64 v[54:55], v[50:51], -v[54:55]
	v_fma_f64 v[28:29], v[176:177], v[244:245], v[0:1]
	v_mul_f64_e32 v[0:1], v[178:179], v[244:245]
	v_fma_f64 v[60:61], v[60:61], -0.5, v[226:227]
	v_add_f64_e32 v[46:47], v[46:47], v[50:51]
	v_add_f64_e32 v[48:49], v[48:49], v[52:53]
	v_add_f64_e64 v[50:51], v[52:53], -v[56:57]
	v_fma_f64 v[52:53], v[66:67], s[10:11], v[58:59]
	v_fma_f64 v[56:57], v[66:67], s[12:13], v[58:59]
	v_add_f64_e32 v[36:37], v[36:37], v[54:55]
	v_fma_f64 v[30:31], v[176:177], v[246:247], -v[0:1]
	v_mul_f64_e32 v[0:1], v[186:187], v[242:243]
	v_fma_f64 v[58:59], v[70:71], s[12:13], v[60:61]
	v_fma_f64 v[60:61], v[70:71], s[10:11], v[60:61]
	v_add_f64_e32 v[38:39], v[38:39], v[50:51]
	v_fma_f64 v[50:51], v[63:64], s[2:3], v[52:53]
	v_fma_f64 v[54:55], v[63:64], s[8:9], v[56:57]
	;; [unrolled: 1-line block ×5, first 2 shown]
	v_add_f64_e64 v[58:59], v[22:23], -v[16:17]
	v_add_f64_e32 v[60:61], v[210:211], v[2:3]
	v_fma_f64 v[50:51], v[36:37], s[14:15], v[50:51]
	v_fma_f64 v[54:55], v[36:37], s[14:15], v[54:55]
	scratch_load_b32 v36, off, off offset:348 th:TH_LOAD_LU ; 4-byte Folded Reload
	v_add_f64_e64 v[63:64], v[0:1], -v[6:7]
	v_fma_f64 v[52:53], v[38:39], s[14:15], v[52:53]
	v_fma_f64 v[56:57], v[38:39], s[14:15], v[56:57]
	s_wait_loadcnt 0x0
	ds_store_b128 v36, v[46:49]
	ds_store_b128 v36, v[50:53] offset:272
	ds_store_b128 v36, v[32:35] offset:544
	;; [unrolled: 1-line block ×4, first 2 shown]
	v_add_f64_e64 v[32:33], v[16:17], -v[22:23]
	v_add_f64_e64 v[34:35], v[28:29], -v[24:25]
	;; [unrolled: 1-line block ×6, first 2 shown]
	v_add_f64_e32 v[54:55], v[220:221], v[16:17]
	v_add_f64_e32 v[56:57], v[222:223], v[18:19]
	;; [unrolled: 1-line block ×3, first 2 shown]
	v_add_f64_e64 v[32:33], v[18:19], -v[26:27]
	v_add_f64_e64 v[34:35], v[30:31], -v[20:21]
	s_delay_alu instid0(VALU_DEP_1) | instskip(SKIP_1) | instid1(VALU_DEP_1)
	v_add_f64_e32 v[38:39], v[32:33], v[34:35]
	v_add_f64_e32 v[32:33], v[22:23], v[24:25]
	v_fma_f64 v[42:43], v[32:33], -0.5, v[220:221]
	v_add_f64_e32 v[32:33], v[26:27], v[20:21]
	s_delay_alu instid0(VALU_DEP_1) | instskip(NEXT) | instid1(VALU_DEP_3)
	v_fma_f64 v[44:45], v[32:33], -0.5, v[222:223]
	v_fma_f64 v[32:33], v[46:47], s[10:11], v[42:43]
	v_fma_f64 v[42:43], v[46:47], s[12:13], v[42:43]
	s_delay_alu instid0(VALU_DEP_3) | instskip(SKIP_1) | instid1(VALU_DEP_4)
	v_fma_f64 v[34:35], v[50:51], s[12:13], v[44:45]
	v_fma_f64 v[44:45], v[50:51], s[10:11], v[44:45]
	;; [unrolled: 1-line block ×3, first 2 shown]
	s_delay_alu instid0(VALU_DEP_4) | instskip(NEXT) | instid1(VALU_DEP_4)
	v_fma_f64 v[42:43], v[48:49], s[8:9], v[42:43]
	v_fma_f64 v[34:35], v[52:53], s[8:9], v[34:35]
	s_delay_alu instid0(VALU_DEP_4) | instskip(NEXT) | instid1(VALU_DEP_4)
	v_fma_f64 v[44:45], v[52:53], s[2:3], v[44:45]
	v_fma_f64 v[32:33], v[36:37], s[14:15], v[32:33]
	s_delay_alu instid0(VALU_DEP_4)
	v_fma_f64 v[42:43], v[36:37], s[14:15], v[42:43]
	v_add_f64_e32 v[36:37], v[16:17], v[28:29]
	v_add_f64_e32 v[16:17], v[54:55], v[22:23]
	;; [unrolled: 1-line block ×3, first 2 shown]
	v_add_f64_e64 v[26:27], v[26:27], -v[18:19]
	v_add_f64_e64 v[54:55], v[6:7], -v[8:9]
	;; [unrolled: 1-line block ×3, first 2 shown]
	v_fma_f64 v[34:35], v[38:39], s[14:15], v[34:35]
	v_fma_f64 v[44:45], v[38:39], s[14:15], v[44:45]
	v_add_f64_e32 v[38:39], v[18:19], v[30:31]
	v_fma_f64 v[36:37], v[36:37], -0.5, v[220:221]
	v_add_f64_e32 v[16:17], v[16:17], v[24:25]
	v_add_f64_e32 v[18:19], v[22:23], v[20:21]
	v_add_f64_e64 v[22:23], v[24:25], -v[28:29]
	v_add_f64_e64 v[20:21], v[20:21], -v[30:31]
	v_fma_f64 v[38:39], v[38:39], -0.5, v[222:223]
	v_fma_f64 v[24:25], v[48:49], s[12:13], v[36:37]
	v_add_f64_e32 v[16:17], v[16:17], v[28:29]
	v_add_f64_e32 v[18:19], v[18:19], v[30:31]
	v_fma_f64 v[28:29], v[48:49], s[10:11], v[36:37]
	v_add_f64_e32 v[26:27], v[26:27], v[20:21]
	v_fma_f64 v[30:31], v[52:53], s[10:11], v[38:39]
	v_fma_f64 v[36:37], v[52:53], s[12:13], v[38:39]
	v_add_f64_e32 v[38:39], v[58:59], v[22:23]
	v_fma_f64 v[20:21], v[46:47], s[2:3], v[24:25]
	v_add_f64_e64 v[52:53], v[2:3], -v[14:15]
	v_fma_f64 v[24:25], v[46:47], s[8:9], v[28:29]
	v_add_f64_e32 v[58:59], v[208:209], v[0:1]
	v_fma_f64 v[22:23], v[50:51], s[8:9], v[30:31]
	v_fma_f64 v[28:29], v[50:51], s[2:3], v[36:37]
	v_add_f64_e64 v[30:31], v[8:9], -v[12:13]
	v_fma_f64 v[20:21], v[38:39], s[14:15], v[20:21]
	v_add_f64_e64 v[50:51], v[10:11], -v[4:5]
	v_fma_f64 v[24:25], v[38:39], s[14:15], v[24:25]
	v_fma_f64 v[22:23], v[26:27], s[14:15], v[22:23]
	;; [unrolled: 1-line block ×3, first 2 shown]
	v_add_f64_e64 v[28:29], v[6:7], -v[0:1]
	s_delay_alu instid0(VALU_DEP_1) | instskip(SKIP_2) | instid1(VALU_DEP_1)
	v_add_f64_e32 v[36:37], v[28:29], v[30:31]
	v_add_f64_e64 v[28:29], v[10:11], -v[2:3]
	v_add_f64_e64 v[30:31], v[4:5], -v[14:15]
	v_add_f64_e32 v[38:39], v[28:29], v[30:31]
	v_add_f64_e32 v[28:29], v[0:1], v[12:13]
	;; [unrolled: 1-line block ×3, first 2 shown]
	s_delay_alu instid0(VALU_DEP_2) | instskip(SKIP_1) | instid1(VALU_DEP_3)
	v_fma_f64 v[46:47], v[28:29], -0.5, v[208:209]
	v_add_f64_e32 v[28:29], v[2:3], v[14:15]
	v_add_f64_e32 v[0:1], v[0:1], v[8:9]
	s_delay_alu instid0(VALU_DEP_2) | instskip(NEXT) | instid1(VALU_DEP_4)
	v_fma_f64 v[48:49], v[28:29], -0.5, v[210:211]
	v_fma_f64 v[28:29], v[50:51], s[12:13], v[46:47]
	v_fma_f64 v[46:47], v[50:51], s[10:11], v[46:47]
	s_delay_alu instid0(VALU_DEP_4) | instskip(NEXT) | instid1(VALU_DEP_4)
	v_add_f64_e32 v[0:1], v[0:1], v[12:13]
	v_fma_f64 v[30:31], v[54:55], s[10:11], v[48:49]
	v_fma_f64 v[48:49], v[54:55], s[12:13], v[48:49]
	;; [unrolled: 1-line block ×4, first 2 shown]
	s_delay_alu instid0(VALU_DEP_4) | instskip(NEXT) | instid1(VALU_DEP_4)
	v_fma_f64 v[30:31], v[56:57], s[8:9], v[30:31]
	v_fma_f64 v[48:49], v[56:57], s[2:3], v[48:49]
	s_delay_alu instid0(VALU_DEP_4) | instskip(NEXT) | instid1(VALU_DEP_4)
	v_fma_f64 v[28:29], v[36:37], s[14:15], v[28:29]
	v_fma_f64 v[46:47], v[36:37], s[14:15], v[46:47]
	v_add_f64_e32 v[36:37], v[6:7], v[8:9]
	v_add_f64_e32 v[6:7], v[60:61], v[10:11]
	v_fma_f64 v[30:31], v[38:39], s[14:15], v[30:31]
	v_fma_f64 v[48:49], v[38:39], s[14:15], v[48:49]
	v_add_f64_e32 v[38:39], v[10:11], v[4:5]
	v_add_f64_e64 v[10:11], v[2:3], -v[10:11]
	v_fma_f64 v[36:37], v[36:37], -0.5, v[208:209]
	v_add_f64_e32 v[2:3], v[6:7], v[4:5]
	v_add_f64_e64 v[6:7], v[12:13], -v[8:9]
	v_add_f64_e64 v[4:5], v[14:15], -v[4:5]
	v_fma_f64 v[38:39], v[38:39], -0.5, v[210:211]
	v_fma_f64 v[8:9], v[52:53], s[10:11], v[36:37]
	v_add_f64_e32 v[2:3], v[2:3], v[14:15]
	v_fma_f64 v[12:13], v[52:53], s[12:13], v[36:37]
	v_add_f64_e32 v[10:11], v[10:11], v[4:5]
	v_fma_f64 v[14:15], v[56:57], s[12:13], v[38:39]
	v_fma_f64 v[36:37], v[56:57], s[10:11], v[38:39]
	v_add_f64_e32 v[38:39], v[63:64], v[6:7]
	v_fma_f64 v[4:5], v[50:51], s[2:3], v[8:9]
	v_fma_f64 v[8:9], v[50:51], s[8:9], v[12:13]
	;; [unrolled: 1-line block ×4, first 2 shown]
	s_delay_alu instid0(VALU_DEP_4) | instskip(NEXT) | instid1(VALU_DEP_4)
	v_fma_f64 v[4:5], v[38:39], s[14:15], v[4:5]
	v_fma_f64 v[8:9], v[38:39], s[14:15], v[8:9]
	s_delay_alu instid0(VALU_DEP_4) | instskip(NEXT) | instid1(VALU_DEP_4)
	v_fma_f64 v[6:7], v[10:11], s[14:15], v[6:7]
	v_fma_f64 v[10:11], v[10:11], s[14:15], v[12:13]
	ds_store_b128 v41, v[16:19]
	ds_store_b128 v41, v[32:35] offset:272
	ds_store_b128 v41, v[20:23] offset:544
	;; [unrolled: 1-line block ×4, first 2 shown]
	ds_store_b128 v65, v[0:3]
	ds_store_b128 v65, v[4:7] offset:272
	ds_store_b128 v65, v[28:31] offset:544
	;; [unrolled: 1-line block ×4, first 2 shown]
	s_and_saveexec_b32 s16, vcc_lo
	s_cbranch_execz .LBB0_9
; %bb.8:
	s_clause 0x5
	scratch_load_b128 v[20:23], off, off offset:388 th:TH_LOAD_LU
	scratch_load_b128 v[28:31], off, off th:TH_LOAD_LU
	scratch_load_b128 v[16:19], off, off offset:372 th:TH_LOAD_LU
	scratch_load_b128 v[36:39], off, off offset:32 th:TH_LOAD_LU
	;; [unrolled: 1-line block ×4, first 2 shown]
	s_wait_loadcnt 0x4
	v_mul_f64_e32 v[0:1], v[22:23], v[28:29]
	s_wait_loadcnt 0x3
	v_mul_f64_e32 v[2:3], v[18:19], v[212:213]
	;; [unrolled: 2-line block ×4, first 2 shown]
	v_mul_f64_e32 v[8:9], v[22:23], v[30:31]
	v_mul_f64_e32 v[10:11], v[26:27], v[34:35]
	;; [unrolled: 1-line block ×4, first 2 shown]
	v_fma_f64 v[0:1], v[20:21], v[30:31], -v[0:1]
	v_fma_f64 v[2:3], v[16:17], v[214:215], -v[2:3]
	;; [unrolled: 1-line block ×4, first 2 shown]
	v_fma_f64 v[8:9], v[20:21], v[28:29], v[8:9]
	v_fma_f64 v[10:11], v[24:25], v[32:33], v[10:11]
	;; [unrolled: 1-line block ×4, first 2 shown]
	v_add_f64_e32 v[28:29], v[218:219], v[2:3]
	v_add_f64_e32 v[16:17], v[2:3], v[4:5]
	;; [unrolled: 1-line block ×3, first 2 shown]
	v_add_f64_e64 v[32:33], v[2:3], -v[4:5]
	v_add_f64_e32 v[20:21], v[8:9], v[10:11]
	v_add_f64_e64 v[24:25], v[8:9], -v[10:11]
	v_add_f64_e64 v[26:27], v[12:13], -v[14:15]
	v_add_f64_e32 v[30:31], v[216:217], v[12:13]
	v_add_f64_e32 v[22:23], v[12:13], v[14:15]
	v_add_f64_e64 v[34:35], v[0:1], -v[6:7]
	v_add_f64_e64 v[36:37], v[0:1], -v[2:3]
	;; [unrolled: 1-line block ×9, first 2 shown]
	v_add_f64_e32 v[0:1], v[28:29], v[0:1]
	v_fma_f64 v[16:17], v[16:17], -0.5, v[218:219]
	v_fma_f64 v[18:19], v[18:19], -0.5, v[218:219]
	;; [unrolled: 1-line block ×3, first 2 shown]
	v_add_f64_e32 v[8:9], v[30:31], v[8:9]
	v_fma_f64 v[22:23], v[22:23], -0.5, v[216:217]
	v_add_f64_e32 v[36:37], v[36:37], v[38:39]
	v_add_f64_e32 v[38:39], v[2:3], v[40:41]
	;; [unrolled: 1-line block ×5, first 2 shown]
	v_fma_f64 v[28:29], v[24:25], s[12:13], v[16:17]
	v_fma_f64 v[16:17], v[24:25], s[10:11], v[16:17]
	;; [unrolled: 1-line block ×6, first 2 shown]
	v_add_f64_e32 v[6:7], v[8:9], v[10:11]
	v_fma_f64 v[50:51], v[34:35], s[12:13], v[22:23]
	v_fma_f64 v[22:23], v[34:35], s[10:11], v[22:23]
	v_add_f64_e32 v[2:3], v[0:1], v[4:5]
	v_fma_f64 v[8:9], v[26:27], s[2:3], v[28:29]
	v_fma_f64 v[10:11], v[26:27], s[8:9], v[16:17]
	;; [unrolled: 1-line block ×6, first 2 shown]
	v_add_f64_e32 v[0:1], v[6:7], v[14:15]
	v_fma_f64 v[26:27], v[32:33], s[2:3], v[50:51]
	v_fma_f64 v[22:23], v[32:33], s[8:9], v[22:23]
	;; [unrolled: 1-line block ×8, first 2 shown]
	s_clause 0x1
	scratch_load_b32 v20, off, off offset:332 th:TH_LOAD_LU
	scratch_load_b32 v21, off, off offset:340 th:TH_LOAD_LU
	v_fma_f64 v[8:9], v[40:41], s[14:15], v[26:27]
	v_fma_f64 v[4:5], v[40:41], s[14:15], v[22:23]
	s_wait_loadcnt 0x0
	v_mad_u16 v20, 0x55, v20, v21
	s_delay_alu instid0(VALU_DEP_1) | instskip(NEXT) | instid1(VALU_DEP_1)
	v_and_b32_e32 v20, 0xffff, v20
	v_lshlrev_b32_e32 v20, 4, v20
	ds_store_b128 v20, v[0:3]
	ds_store_b128 v20, v[16:19] offset:272
	ds_store_b128 v20, v[8:11] offset:544
	ds_store_b128 v20, v[4:7] offset:816
	ds_store_b128 v20, v[12:15] offset:1088
.LBB0_9:
	s_wait_alu 0xfffe
	s_or_b32 exec_lo, exec_lo, s16
	global_wb scope:SCOPE_SE
	s_wait_dscnt 0x0
	s_barrier_signal -1
	s_barrier_wait -1
	global_inv scope:SCOPE_SE
	ds_load_b128 v[152:155], v62 offset:1360
	ds_load_b128 v[80:83], v62 offset:21760
	ds_load_b128 v[68:71], v62
	ds_load_b128 v[4:7], v62 offset:2720
	ds_load_b128 v[8:11], v62 offset:4080
	;; [unrolled: 1-line block ×14, first 2 shown]
	s_mov_b32 s26, 0x5d8e7cdc
	s_mov_b32 s27, 0xbfd71e95
	;; [unrolled: 1-line block ×6, first 2 shown]
	s_wait_dscnt 0xd
	v_mul_f64_e32 v[50:51], v[102:103], v[4:5]
	v_mul_f64_e32 v[54:55], v[102:103], v[6:7]
	s_wait_dscnt 0xc
	v_mul_f64_e32 v[56:57], v[94:95], v[10:11]
	v_mul_f64_e32 v[58:59], v[94:95], v[8:9]
	;; [unrolled: 3-line block ×3, first 2 shown]
	s_wait_dscnt 0xa
	v_mul_f64_e32 v[65:66], v[130:131], v[20:21]
	s_wait_dscnt 0x9
	v_mul_f64_e32 v[86:87], v[122:123], v[30:31]
	v_mul_f64_e32 v[102:103], v[122:123], v[28:29]
	s_mov_b32 s20, 0x2b2883cd
	v_mul_f64_e32 v[0:1], v[134:135], v[152:153]
	v_mul_f64_e32 v[2:3], v[142:143], v[80:81]
	;; [unrolled: 1-line block ×4, first 2 shown]
	s_wait_dscnt 0x0
	v_mul_f64_e32 v[52:53], v[138:139], v[22:23]
	v_mul_f64_e32 v[94:95], v[138:139], v[24:25]
	;; [unrolled: 1-line block ×11, first 2 shown]
	s_mov_b32 s12, 0xeb564b22
	s_mov_b32 s14, 0x3259b75e
	;; [unrolled: 1-line block ×13, first 2 shown]
	v_fma_f64 v[50:51], v[100:101], v[6:7], -v[50:51]
	v_fma_f64 v[54:55], v[100:101], v[4:5], v[54:55]
	v_mul_f64_e32 v[100:101], v[110:111], v[74:75]
	v_fma_f64 v[56:57], v[92:93], v[8:9], v[56:57]
	s_mov_b32 s21, 0x3fdc86fa
	v_fma_f64 v[110:111], v[84:85], v[16:17], -v[63:64]
	s_mov_b32 s13, 0xbfefdd0d
	s_mov_b32 s15, 0x3fb79ee6
	v_fma_f64 v[208:209], v[120:121], v[30:31], -v[102:103]
	s_mov_b32 s31, 0xbfeec746
	v_fma_f64 v[48:49], v[132:133], v[154:155], -v[0:1]
	v_fma_f64 v[0:1], v[140:141], v[82:83], -v[2:3]
	v_mul_f64_e32 v[82:83], v[130:131], v[18:19]
	v_fma_f64 v[122:123], v[132:133], v[152:153], v[12:13]
	v_fma_f64 v[2:3], v[140:141], v[80:81], v[26:27]
	v_fma_f64 v[6:7], v[136:137], v[24:25], -v[52:53]
	v_mul_f64_e32 v[140:141], v[126:127], v[42:43]
	v_mul_f64_e32 v[126:127], v[126:127], v[40:41]
	;; [unrolled: 1-line block ×6, first 2 shown]
	v_fma_f64 v[98:99], v[84:85], v[14:15], v[60:61]
	v_fma_f64 v[80:81], v[120:121], v[28:29], v[86:87]
	;; [unrolled: 1-line block ×4, first 2 shown]
	v_fma_f64 v[86:87], v[112:113], v[34:35], -v[114:115]
	v_fma_f64 v[112:113], v[116:117], v[46:47], -v[118:119]
	s_mov_b32 s41, 0xbfd183b1
	s_mov_b32 s35, 0xbfe9895b
	;; [unrolled: 1-line block ×6, first 2 shown]
	v_fma_f64 v[58:59], v[92:93], v[10:11], -v[58:59]
	v_fma_f64 v[212:213], v[128:129], v[18:19], v[65:66]
	v_fma_f64 v[4:5], v[104:105], v[38:39], -v[106:107]
	v_fma_f64 v[114:115], v[116:117], v[44:45], v[142:143]
	v_fma_f64 v[16:17], v[144:145], v[76:77], v[160:161]
	v_fma_f64 v[214:215], v[144:145], v[78:79], -v[146:147]
	v_fma_f64 v[10:11], v[108:109], v[72:73], v[100:101]
	s_mov_b32 s3, 0x3fd71e95
	s_mov_b32 s9, 0x3fe58eea
	;; [unrolled: 1-line block ×7, first 2 shown]
	v_add_f64_e32 v[46:47], v[70:71], v[48:49]
	v_add_f64_e64 v[130:131], v[48:49], -v[0:1]
	v_add_f64_e32 v[132:133], v[48:49], v[0:1]
	v_fma_f64 v[210:211], v[128:129], v[20:21], -v[82:83]
	v_add_f64_e32 v[60:61], v[68:69], v[122:123]
	v_add_f64_e32 v[63:64], v[122:123], v[2:3]
	v_add_f64_e64 v[48:49], v[50:51], -v[6:7]
	s_clause 0x2
	scratch_store_b64 off, v[0:1], off
	scratch_store_b64 off, v[2:3], off offset:16
	scratch_store_b64 off, v[6:7], off offset:32
	v_add_f64_e64 v[65:66], v[122:123], -v[2:3]
	v_fma_f64 v[0:1], v[104:105], v[36:37], v[138:139]
	v_fma_f64 v[2:3], v[124:125], v[40:41], v[140:141]
	v_fma_f64 v[14:15], v[124:125], v[42:43], -v[126:127]
	scratch_store_b64 off, v[8:9], off offset:332 ; 8-byte Folded Spill
	v_add_f64_e32 v[118:119], v[50:51], v[6:7]
	v_fma_f64 v[116:117], v[96:97], v[156:157], v[152:153]
	v_fma_f64 v[204:205], v[96:97], v[158:159], -v[154:155]
	v_fma_f64 v[34:35], v[88:89], v[148:149], v[52:53]
	v_fma_f64 v[206:207], v[88:89], v[150:151], -v[90:91]
	v_fma_f64 v[6:7], v[108:109], v[74:75], -v[162:163]
	v_add_f64_e32 v[74:75], v[54:55], v[8:9]
	v_add_f64_e64 v[76:77], v[54:55], -v[8:9]
	s_mov_b32 s55, 0x3fc7851a
	s_wait_alu 0xfffe
	s_mov_b32 s2, s26
	s_mov_b32 s8, s22
	;; [unrolled: 1-line block ×8, first 2 shown]
	scratch_store_b64 off, v[4:5], off offset:388 ; 8-byte Folded Spill
	v_add_f64_e64 v[194:195], v[56:57], -v[10:11]
	v_add_f64_e32 v[192:193], v[56:57], v[10:11]
	scratch_store_b64 off, v[10:11], off offset:372 ; 8-byte Folded Spill
	v_add_f64_e32 v[46:47], v[46:47], v[50:51]
	v_mul_f64_e32 v[82:83], s[26:27], v[130:131]
	v_mul_f64_e32 v[84:85], s[28:29], v[132:133]
	;; [unrolled: 1-line block ×16, first 2 shown]
	v_add_f64_e32 v[54:55], v[60:61], v[54:55]
	v_mul_f64_e32 v[50:51], s[22:23], v[48:49]
	v_mul_f64_e32 v[132:133], s[24:25], v[118:119]
	s_clause 0x2
	scratch_store_b64 off, v[0:1], off offset:340
	scratch_store_b64 off, v[2:3], off offset:348
	;; [unrolled: 1-line block ×3, first 2 shown]
	v_mul_f64_e32 v[138:139], s[12:13], v[48:49]
	v_mul_f64_e32 v[140:141], s[14:15], v[118:119]
	;; [unrolled: 1-line block ×4, first 2 shown]
	v_add_f64_e32 v[202:203], v[46:47], v[58:59]
	v_fma_f64 v[60:61], v[63:64], s[28:29], v[82:83]
	s_wait_alu 0xfffe
	v_fma_f64 v[90:91], v[65:66], s[2:3], v[84:85]
	v_fma_f64 v[82:83], v[63:64], s[28:29], -v[82:83]
	v_fma_f64 v[84:85], v[65:66], s[26:27], v[84:85]
	v_fma_f64 v[100:101], v[63:64], s[24:25], v[92:93]
	v_fma_f64 v[108:109], v[65:66], s[8:9], v[94:95]
	v_fma_f64 v[92:93], v[63:64], s[24:25], -v[92:93]
	v_fma_f64 v[94:95], v[65:66], s[22:23], v[94:95]
	v_fma_f64 v[120:121], v[63:64], s[20:21], v[36:37]
	;; [unrolled: 4-line block ×8, first 2 shown]
	v_fma_f64 v[50:51], v[74:75], s[24:25], -v[50:51]
	v_add_f64_e32 v[182:183], v[54:55], v[56:57]
	v_add_f64_e32 v[60:61], v[68:69], v[60:61]
	;; [unrolled: 1-line block ×10, first 2 shown]
	v_fma_f64 v[94:95], v[76:77], s[8:9], v[132:133]
	v_add_f64_e32 v[36:37], v[68:69], v[36:37]
	v_mul_f64_e32 v[82:83], s[38:39], v[48:49]
	v_add_f64_e32 v[124:125], v[68:69], v[124:125]
	v_mul_f64_e32 v[92:93], s[50:51], v[48:49]
	;; [unrolled: 2-line block ×3, first 2 shown]
	v_add_f64_e32 v[160:161], v[68:69], v[128:129]
	v_add_f64_e32 v[162:163], v[70:71], v[130:131]
	;; [unrolled: 1-line block ×5, first 2 shown]
	v_mul_f64_e32 v[104:105], s[48:49], v[118:119]
	v_add_f64_e32 v[170:171], v[68:69], v[96:97]
	v_fma_f64 v[96:97], v[76:77], s[22:23], v[132:133]
	v_add_f64_e32 v[174:175], v[68:69], v[146:147]
	v_add_f64_e32 v[172:173], v[70:71], v[106:107]
	;; [unrolled: 1-line block ×3, first 2 shown]
	v_fma_f64 v[106:107], v[74:75], s[14:15], v[138:139]
	v_add_f64_e32 v[178:179], v[68:69], v[150:151]
	v_add_f64_e32 v[150:151], v[58:59], v[6:7]
	;; [unrolled: 1-line block ×3, first 2 shown]
	v_add_f64_e64 v[67:68], v[58:59], -v[6:7]
	v_fma_f64 v[130:131], v[76:77], s[16:17], v[140:141]
	v_add_f64_e32 v[122:123], v[70:71], v[122:123]
	v_add_f64_e32 v[38:39], v[70:71], v[38:39]
	;; [unrolled: 1-line block ×6, first 2 shown]
	scratch_store_b64 off, v[14:15], off offset:404 ; 8-byte Folded Spill
	v_mul_f64_e32 v[128:129], s[42:43], v[48:49]
	v_mul_f64_e32 v[132:133], s[40:41], v[118:119]
	v_fma_f64 v[134:135], v[74:75], s[14:15], -v[138:139]
	v_fma_f64 v[136:137], v[76:77], s[12:13], v[140:141]
	v_add_f64_e32 v[176:177], v[70:71], v[148:149]
	v_fma_f64 v[138:139], v[74:75], s[44:45], v[142:143]
	v_fma_f64 v[146:147], v[76:77], s[46:47], v[144:145]
	v_add_f64_e32 v[72:73], v[70:71], v[72:73]
	v_add_f64_e32 v[12:13], v[70:71], v[152:153]
	v_fma_f64 v[142:143], v[74:75], s[44:45], -v[142:143]
	v_fma_f64 v[144:145], v[76:77], s[34:35], v[144:145]
	v_add_f64_e32 v[65:66], v[70:71], v[65:66]
	v_fma_f64 v[69:70], v[74:75], s[52:53], v[82:83]
	v_fma_f64 v[54:55], v[74:75], s[52:53], -v[82:83]
	v_fma_f64 v[58:59], v[74:75], s[48:49], v[92:93]
	v_fma_f64 v[152:153], v[76:77], s[54:55], v[84:85]
	v_mul_f64_e32 v[148:149], s[20:21], v[118:119]
	v_mul_f64_e32 v[140:141], s[10:11], v[48:49]
	;; [unrolled: 1-line block ×3, first 2 shown]
	v_fma_f64 v[60:61], v[76:77], s[36:37], v[104:105]
	v_fma_f64 v[46:47], v[76:77], s[38:39], v[84:85]
	v_mul_f64_e32 v[118:119], s[28:29], v[118:119]
	v_mul_f64_e32 v[198:199], s[20:21], v[150:151]
	;; [unrolled: 1-line block ×4, first 2 shown]
	scratch_store_b64 off, v[6:7], off offset:420 ; 8-byte Folded Spill
	v_add_f64_e32 v[6:7], v[94:95], v[78:79]
	v_fma_f64 v[78:79], v[76:77], s[50:51], v[104:105]
	v_add_f64_e32 v[104:105], v[138:139], v[120:121]
	v_add_f64_e32 v[120:121], v[142:143], v[36:37]
	v_mul_f64_e32 v[36:37], s[34:35], v[67:68]
	v_add_f64_e32 v[124:125], v[69:70], v[124:125]
	v_mul_f64_e32 v[69:70], s[42:43], v[67:68]
	v_add_f64_e32 v[126:127], v[152:153], v[126:127]
	v_dual_mov_b32 v152, v214 :: v_dual_mov_b32 v153, v215
	v_fma_f64 v[188:189], v[76:77], s[10:11], v[148:149]
	v_fma_f64 v[180:181], v[74:75], s[20:21], v[140:141]
	;; [unrolled: 1-line block ×3, first 2 shown]
	v_fma_f64 v[186:187], v[74:75], s[20:21], -v[140:141]
	v_fma_f64 v[190:191], v[74:75], s[28:29], v[48:49]
	v_fma_f64 v[8:9], v[74:75], s[28:29], -v[48:49]
	v_fma_f64 v[10:11], v[76:77], s[2:3], v[118:119]
	v_fma_f64 v[48:49], v[194:195], s[18:19], v[198:199]
	;; [unrolled: 1-line block ×4, first 2 shown]
	v_fma_f64 v[246:247], v[192:193], s[28:29], -v[200:201]
	scratch_store_b64 off, v[6:7], off offset:428 ; 8-byte Folded Spill
	v_add_f64_e32 v[6:7], v[50:51], v[90:91]
	v_fma_f64 v[50:51], v[74:75], s[48:49], -v[92:93]
	v_add_f64_e32 v[138:139], v[78:79], v[164:165]
	v_mul_f64_e32 v[78:79], s[52:53], v[150:151]
	v_mul_f64_e32 v[164:165], s[48:49], v[150:151]
	v_fma_f64 v[254:255], v[192:193], s[40:41], -v[69:70]
	v_add_f64_e32 v[148:149], v[180:181], v[174:175]
	v_add_f64_e32 v[94:95], v[184:185], v[176:177]
	scratch_store_b64 off, v[6:7], off offset:436 ; 8-byte Folded Spill
	v_add_f64_e32 v[6:7], v[96:97], v[154:155]
	v_fma_f64 v[154:155], v[74:75], s[40:41], v[128:129]
	v_fma_f64 v[22:23], v[194:195], s[38:39], v[78:79]
	v_fma_f64 v[24:25], v[194:195], s[54:55], v[78:79]
	v_fma_f64 v[238:239], v[194:195], s[50:51], v[164:165]
	v_fma_f64 v[236:237], v[194:195], s[36:37], v[164:165]
	v_add_f64_e32 v[96:97], v[186:187], v[52:53]
	scratch_store_b64 off, v[6:7], off offset:444 ; 8-byte Folded Spill
	v_add_f64_e32 v[6:7], v[106:107], v[100:101]
	v_add_f64_e32 v[100:101], v[136:137], v[158:159]
	v_fma_f64 v[158:159], v[76:77], s[42:43], v[132:133]
	v_add_f64_e32 v[106:107], v[146:147], v[122:123]
	v_add_f64_e32 v[122:123], v[144:145], v[38:39]
	v_mul_f64_e32 v[38:39], s[54:55], v[67:68]
	v_add_f64_e32 v[136:137], v[50:51], v[44:45]
	v_add_f64_e32 v[140:141], v[154:155], v[166:167]
	;; [unrolled: 1-line block ×3, first 2 shown]
	v_fma_f64 v[50:51], v[192:193], s[44:45], v[36:37]
	v_fma_f64 v[44:45], v[194:195], s[10:11], v[198:199]
	scratch_store_b64 off, v[6:7], off offset:452 ; 8-byte Folded Spill
	v_add_f64_e32 v[6:7], v[130:131], v[108:109]
	v_fma_f64 v[108:109], v[76:77], s[30:31], v[132:133]
	v_add_f64_e32 v[132:133], v[58:59], v[160:161]
	v_mul_f64_e32 v[58:59], s[12:13], v[67:68]
	v_mul_f64_e32 v[160:161], s[40:41], v[150:151]
	v_add_f64_e32 v[146:147], v[158:159], v[172:173]
	v_mul_f64_e32 v[158:159], s[14:15], v[150:151]
	v_add_f64_e32 v[130:131], v[46:47], v[42:43]
	v_fma_f64 v[42:43], v[192:193], s[44:45], -v[36:37]
	v_fma_f64 v[36:37], v[192:193], s[40:41], v[69:70]
	v_fma_f64 v[46:47], v[192:193], s[20:21], -v[196:197]
	v_add_f64_e32 v[22:23], v[22:23], v[106:107]
	v_add_f64_e64 v[106:107], v[212:213], -v[34:35]
	v_add_f64_e32 v[24:25], v[24:25], v[122:123]
	scratch_store_b64 off, v[6:7], off offset:460 ; 8-byte Folded Spill
	v_add_f64_e32 v[6:7], v[134:135], v[156:157]
	v_fma_f64 v[156:157], v[74:75], s[40:41], -v[128:129]
	v_add_f64_e32 v[128:129], v[54:55], v[40:41]
	v_mul_f64_e32 v[54:55], s[8:9], v[67:68]
	v_add_f64_e32 v[134:135], v[60:61], v[162:163]
	v_mul_f64_e32 v[60:61], s[36:37], v[67:68]
	v_mul_f64_e32 v[67:68], s[44:45], v[150:151]
	v_add_f64_e32 v[142:143], v[108:109], v[168:169]
	v_mul_f64_e32 v[108:109], s[24:25], v[150:151]
	v_mul_f64_e32 v[162:163], s[28:29], v[150:151]
	v_dual_mov_b32 v151, v17 :: v_dual_mov_b32 v150, v16
	v_fma_f64 v[40:41], v[192:193], s[52:53], v[38:39]
	v_fma_f64 v[38:39], v[192:193], s[52:53], -v[38:39]
	v_fma_f64 v[244:245], v[192:193], s[14:15], v[58:59]
	v_fma_f64 v[242:243], v[192:193], s[14:15], -v[58:59]
	v_fma_f64 v[26:27], v[194:195], s[30:31], v[160:161]
	v_fma_f64 v[28:29], v[194:195], s[42:43], v[160:161]
	;; [unrolled: 1-line block ×3, first 2 shown]
	v_add_f64_e32 v[36:37], v[36:37], v[124:125]
	scratch_store_b64 off, v[6:7], off offset:468 ; 8-byte Folded Spill
	v_fma_f64 v[6:7], v[76:77], s[26:27], v[118:119]
	v_add_f64_e32 v[118:119], v[98:99], v[150:151]
	v_add_f64_e32 v[144:145], v[156:157], v[170:171]
	;; [unrolled: 1-line block ×3, first 2 shown]
	v_fma_f64 v[252:253], v[192:193], s[24:25], v[54:55]
	v_fma_f64 v[18:19], v[194:195], s[46:47], v[67:68]
	;; [unrolled: 1-line block ×3, first 2 shown]
	v_add_f64_e64 v[67:68], v[110:111], -v[152:153]
	v_fma_f64 v[30:31], v[194:195], s[22:23], v[108:109]
	v_fma_f64 v[32:33], v[194:195], s[8:9], v[108:109]
	v_fma_f64 v[250:251], v[192:193], s[24:25], -v[54:55]
	v_fma_f64 v[240:241], v[192:193], s[48:49], v[60:61]
	v_fma_f64 v[234:235], v[192:193], s[48:49], -v[60:61]
	v_fma_f64 v[60:61], v[194:195], s[2:3], v[162:163]
	v_fma_f64 v[58:59], v[194:195], s[26:27], v[162:163]
	;; [unrolled: 1-line block ×3, first 2 shown]
	v_add_f64_e32 v[38:39], v[38:39], v[120:121]
	v_add_f64_e32 v[26:27], v[26:27], v[126:127]
	;; [unrolled: 1-line block ×4, first 2 shown]
	v_add_f64_e64 v[104:105], v[208:209], -v[204:205]
	v_add_f64_e32 v[52:53], v[52:53], v[154:155]
	v_add_f64_e32 v[20:21], v[20:21], v[100:101]
	v_mul_f64_e32 v[69:70], s[12:13], v[67:68]
	v_mul_f64_e32 v[71:72], s[38:39], v[67:68]
	;; [unrolled: 1-line block ×8, first 2 shown]
	v_add_f64_e32 v[100:101], v[208:209], v[204:205]
	v_add_f64_e32 v[30:31], v[30:31], v[134:135]
	;; [unrolled: 1-line block ×8, first 2 shown]
	v_mul_f64_e32 v[156:157], s[38:39], v[104:105]
	v_mul_f64_e32 v[154:155], s[22:23], v[104:105]
	v_fma_f64 v[200:201], v[118:119], s[14:15], v[69:70]
	v_fma_f64 v[198:199], v[118:119], s[14:15], -v[69:70]
	v_fma_f64 v[196:197], v[118:119], s[52:53], v[71:72]
	v_fma_f64 v[194:195], v[118:119], s[52:53], -v[71:72]
	;; [unrolled: 2-line block ×3, first 2 shown]
	v_fma_f64 v[188:189], v[118:119], s[28:29], v[75:76]
	v_fma_f64 v[170:171], v[118:119], s[24:25], v[67:68]
	v_fma_f64 v[164:165], v[118:119], s[24:25], -v[67:68]
	v_add_f64_e32 v[67:68], v[110:111], v[152:153]
	v_fma_f64 v[186:187], v[118:119], s[28:29], -v[75:76]
	v_fma_f64 v[184:185], v[118:119], s[20:21], v[77:78]
	v_fma_f64 v[180:181], v[118:119], s[20:21], -v[77:78]
	v_fma_f64 v[178:179], v[118:119], s[48:49], v[82:83]
	;; [unrolled: 2-line block ×3, first 2 shown]
	v_fma_f64 v[172:173], v[118:119], s[44:45], -v[108:109]
	v_add_f64_e32 v[72:73], v[202:203], v[110:111]
	v_add_f64_e32 v[69:70], v[182:183], v[98:99]
	v_add_f64_e64 v[74:75], v[98:99], -v[150:151]
	v_add_f64_e32 v[40:41], v[192:193], v[40:41]
	v_add_f64_e32 v[38:39], v[190:191], v[38:39]
	;; [unrolled: 1-line block ×3, first 2 shown]
	v_mul_f64_e32 v[76:77], s[14:15], v[67:68]
	v_mul_f64_e32 v[78:79], s[52:53], v[67:68]
	;; [unrolled: 1-line block ×8, first 2 shown]
	v_add_f64_e32 v[72:73], v[72:73], v[210:211]
	v_fma_f64 v[232:233], v[74:75], s[16:17], v[76:77]
	v_fma_f64 v[230:231], v[74:75], s[12:13], v[76:77]
	;; [unrolled: 1-line block ×9, first 2 shown]
	v_add_f64_e32 v[67:68], v[69:70], v[212:213]
	v_add_f64_e32 v[72:73], v[72:73], v[208:209]
	v_fma_f64 v[218:219], v[74:75], s[2:3], v[98:99]
	v_fma_f64 v[216:217], v[74:75], s[10:11], v[108:109]
	;; [unrolled: 1-line block ×7, first 2 shown]
	v_add_f64_e64 v[78:79], v[80:81], -v[116:117]
	v_add_f64_e64 v[70:71], v[102:103], -v[114:115]
	v_add_f64_e32 v[20:21], v[226:227], v[20:21]
	v_add_f64_e32 v[22:23], v[224:225], v[22:23]
	;; [unrolled: 1-line block ×13, first 2 shown]
	v_mul_f64_e32 v[88:89], s[34:35], v[104:105]
	v_mul_f64_e32 v[90:91], s[44:45], v[100:101]
	;; [unrolled: 1-line block ×3, first 2 shown]
	v_add_f64_e32 v[58:59], v[84:85], v[58:59]
	v_add_f64_e32 v[84:85], v[170:171], v[96:97]
	v_mul_f64_e32 v[96:97], s[26:27], v[104:105]
	v_add_f64_e32 v[67:68], v[67:68], v[102:103]
	v_add_f64_e32 v[72:73], v[72:73], v[4:5]
	s_delay_alu instid0(VALU_DEP_2) | instskip(NEXT) | instid1(VALU_DEP_2)
	v_add_f64_e32 v[67:68], v[67:68], v[0:1]
	v_add_f64_e32 v[76:77], v[72:73], v[14:15]
	;; [unrolled: 1-line block ×4, first 2 shown]
	s_delay_alu instid0(VALU_DEP_4) | instskip(NEXT) | instid1(VALU_DEP_4)
	v_add_f64_e32 v[74:75], v[67:68], v[2:3]
	v_add_f64_e32 v[16:17], v[76:77], v[112:113]
	v_add_f64_e32 v[76:77], v[80:81], v[116:117]
	v_add_f64_e64 v[80:81], v[210:211], -v[206:207]
	v_add_f64_e32 v[68:69], v[102:103], v[114:115]
	v_add_f64_e32 v[98:99], v[74:75], v[114:115]
	v_add_f64_e64 v[74:75], v[86:87], -v[112:113]
	v_add_f64_e32 v[16:17], v[16:17], v[204:205]
	v_mul_f64_e32 v[86:87], s[30:31], v[80:81]
	v_mul_f64_e32 v[102:103], s[8:9], v[80:81]
	;; [unrolled: 1-line block ×6, first 2 shown]
	v_add_f64_e32 v[14:15], v[98:99], v[116:117]
	v_mul_f64_e32 v[98:99], s[50:51], v[80:81]
	v_mul_f64_e32 v[80:81], s[34:35], v[80:81]
	v_fma_f64 v[182:183], v[0:1], s[40:41], v[86:87]
	v_fma_f64 v[168:169], v[0:1], s[40:41], -v[86:87]
	v_fma_f64 v[160:161], v[0:1], s[24:25], v[102:103]
	v_fma_f64 v[158:159], v[0:1], s[24:25], -v[102:103]
	;; [unrolled: 2-line block ×5, first 2 shown]
	v_fma_f64 v[102:103], v[0:1], s[28:29], v[4:5]
	v_add_f64_e32 v[2:3], v[8:9], v[63:64]
	scratch_load_b64 v[8:9], off, off offset:428 th:TH_LOAD_LU ; 8-byte Folded Reload
	v_add_f64_e32 v[63:64], v[246:247], v[144:145]
	v_add_f64_e32 v[16:17], v[16:17], v[206:207]
	;; [unrolled: 1-line block ×3, first 2 shown]
	v_fma_f64 v[166:167], v[0:1], s[48:49], v[98:99]
	v_fma_f64 v[162:163], v[0:1], s[48:49], -v[98:99]
	v_fma_f64 v[98:99], v[0:1], s[28:29], -v[4:5]
	v_fma_f64 v[86:87], v[0:1], s[44:45], v[80:81]
	v_fma_f64 v[80:81], v[0:1], s[44:45], -v[80:81]
	v_add_f64_e32 v[0:1], v[6:7], v[12:13]
	scratch_load_b64 v[12:13], off, off offset:444 th:TH_LOAD_LU ; 8-byte Folded Reload
	v_add_f64_e32 v[4:5], v[10:11], v[65:66]
	s_clause 0x1
	scratch_load_b64 v[6:7], off, off offset:420 th:TH_LOAD_LU
	scratch_load_b64 v[10:11], off, off offset:436 th:TH_LOAD_LU
	v_add_f64_e32 v[34:35], v[210:211], v[206:207]
	v_add_f64_e32 v[65:66], v[244:245], v[148:149]
	;; [unrolled: 1-line block ×4, first 2 shown]
	v_fma_f64 v[158:159], v[76:77], s[44:45], v[88:89]
	v_add_f64_e32 v[63:64], v[176:177], v[63:64]
	v_add_f64_e32 v[16:17], v[16:17], v[152:153]
	v_mul_f64_e32 v[152:153], s[16:17], v[104:105]
	v_fma_f64 v[88:89], v[76:77], s[44:45], -v[88:89]
	v_add_f64_e32 v[40:41], v[160:161], v[40:41]
	v_mul_f64_e32 v[160:161], s[36:37], v[74:75]
	v_add_f64_e32 v[36:37], v[118:119], v[36:37]
	v_fma_f64 v[118:119], v[76:77], s[28:29], v[96:97]
	v_fma_f64 v[96:97], v[76:77], s[28:29], -v[96:97]
	v_add_f64_e32 v[14:15], v[14:15], v[150:151]
	v_mul_f64_e32 v[150:151], s[36:37], v[104:105]
	v_mul_f64_e32 v[104:105], s[10:11], v[104:105]
	v_add_f64_e32 v[82:83], v[98:99], v[82:83]
	v_add_f64_e32 v[84:85], v[86:87], v[84:85]
	v_mul_f64_e32 v[98:99], s[14:15], v[72:73]
	v_add_f64_e32 v[0:1], v[238:239], v[0:1]
	v_add_f64_e32 v[4:5], v[236:237], v[4:5]
	v_mul_f64_e32 v[120:121], s[40:41], v[34:35]
	v_mul_f64_e32 v[122:123], s[48:49], v[34:35]
	;; [unrolled: 1-line block ×5, first 2 shown]
	v_add_f64_e32 v[2:3], v[164:165], v[2:3]
	scratch_load_b64 v[164:165], off, off offset:356 th:TH_LOAD_LU ; 8-byte Folded Reload
	v_add_f64_e32 v[65:66], v[174:175], v[65:66]
	v_add_f64_e32 v[63:64], v[108:109], v[63:64]
	v_fma_f64 v[86:87], v[76:77], s[14:15], -v[152:153]
	v_add_f64_e32 v[40:41], v[118:119], v[40:41]
	v_add_f64_e32 v[38:39], v[96:97], v[38:39]
	v_fma_f64 v[96:97], v[76:77], s[52:53], v[156:157]
	v_add_f64_e32 v[0:1], v[92:93], v[0:1]
	v_mul_f64_e32 v[92:93], s[40:41], v[100:101]
	v_add_f64_e32 v[4:5], v[202:203], v[4:5]
	v_fma_f64 v[134:135], v[106:107], s[42:43], v[120:121]
	v_fma_f64 v[120:121], v[106:107], s[30:31], v[120:121]
	;; [unrolled: 1-line block ×6, first 2 shown]
	v_add_f64_e32 v[2:3], v[80:81], v[2:3]
	v_add_f64_e32 v[65:66], v[102:103], v[65:66]
	v_fma_f64 v[102:103], v[76:77], s[24:25], -v[154:155]
	v_add_f64_e32 v[22:23], v[138:139], v[22:23]
	v_add_f64_e32 v[24:25], v[124:125], v[24:25]
	v_fma_f64 v[124:125], v[78:79], s[30:31], v[92:93]
	v_fma_f64 v[92:93], v[78:79], s[42:43], v[92:93]
	v_mul_f64_e32 v[138:139], s[48:49], v[72:73]
	v_add_f64_e32 v[60:61], v[144:145], v[60:61]
	v_add_f64_e32 v[58:59], v[130:131], v[58:59]
	v_mul_f64_e32 v[130:131], s[26:27], v[74:75]
	v_add_f64_e32 v[63:64], v[102:103], v[63:64]
	v_mul_f64_e32 v[102:103], s[8:9], v[74:75]
	v_add_f64_e32 v[65:66], v[96:97], v[65:66]
	s_wait_loadcnt 0x3
	v_add_f64_e32 v[12:13], v[48:49], v[12:13]
	v_add_f64_e32 v[48:49], v[252:253], v[132:133]
	v_mul_f64_e32 v[132:133], s[28:29], v[34:35]
	s_wait_loadcnt 0x1
	v_add_f64_e32 v[10:11], v[46:47], v[10:11]
	scratch_load_b64 v[46:47], off, off offset:460 th:TH_LOAD_LU ; 8-byte Folded Reload
	v_add_f64_e32 v[6:7], v[56:57], v[6:7]
	v_add_f64_e32 v[56:57], v[248:249], v[140:141]
	v_fma_f64 v[140:141], v[106:107], s[10:11], v[126:127]
	v_fma_f64 v[126:127], v[106:107], s[18:19], v[126:127]
	v_add_f64_e32 v[12:13], v[230:231], v[12:13]
	v_add_f64_e32 v[48:49], v[184:185], v[48:49]
	v_fma_f64 v[146:147], v[106:107], s[2:3], v[132:133]
	v_fma_f64 v[132:133], v[106:107], s[26:27], v[132:133]
	v_add_f64_e32 v[10:11], v[198:199], v[10:11]
	v_add_f64_e32 v[6:7], v[200:201], v[6:7]
	;; [unrolled: 1-line block ×6, first 2 shown]
	v_mul_f64_e32 v[120:121], s[14:15], v[100:101]
	v_add_f64_e32 v[54:55], v[146:147], v[54:55]
	v_add_f64_e32 v[48:49], v[114:115], v[48:49]
	;; [unrolled: 1-line block ×5, first 2 shown]
	v_fma_f64 v[110:111], v[76:77], s[52:53], -v[156:157]
	v_fma_f64 v[114:115], v[76:77], s[14:15], v[152:153]
	v_add_f64_e32 v[52:53], v[132:133], v[52:53]
	v_mul_f64_e32 v[132:133], s[28:29], v[72:73]
	v_add_f64_e32 v[10:11], v[88:89], v[10:11]
	v_fma_f64 v[88:89], v[78:79], s[16:17], v[120:121]
	v_add_f64_e32 v[6:7], v[158:159], v[6:7]
	v_add_f64_e32 v[82:83], v[110:111], v[82:83]
	;; [unrolled: 1-line block ×3, first 2 shown]
	v_mul_f64_e32 v[114:115], s[46:47], v[74:75]
	s_wait_loadcnt 0x0
	v_add_f64_e32 v[18:19], v[18:19], v[46:47]
	scratch_load_b64 v[46:47], off, off offset:468 th:TH_LOAD_LU ; 8-byte Folded Reload
	v_add_f64_e32 v[18:19], v[228:229], v[18:19]
	s_wait_loadcnt 0x0
	v_add_f64_e32 v[42:43], v[42:43], v[46:47]
	v_add_f64_e32 v[46:47], v[254:255], v[128:129]
	v_mul_f64_e32 v[128:129], s[52:53], v[34:35]
	v_mul_f64_e32 v[34:35], s[44:45], v[34:35]
	s_delay_alu instid0(VALU_DEP_4) | instskip(NEXT) | instid1(VALU_DEP_4)
	v_add_f64_e32 v[42:43], v[194:195], v[42:43]
	v_add_f64_e32 v[46:47], v[186:187], v[46:47]
	s_delay_alu instid0(VALU_DEP_4) | instskip(NEXT) | instid1(VALU_DEP_4)
	v_fma_f64 v[142:143], v[106:107], s[54:55], v[128:129]
	v_fma_f64 v[148:149], v[106:107], s[46:47], v[34:35]
	;; [unrolled: 1-line block ×4, first 2 shown]
	v_add_f64_e32 v[42:43], v[162:163], v[42:43]
	scratch_load_b64 v[162:163], off, off offset:372 th:TH_LOAD_LU ; 8-byte Folded Reload
	v_add_f64_e32 v[8:9], v[44:45], v[8:9]
	scratch_load_b64 v[44:45], off, off offset:452 th:TH_LOAD_LU ; 8-byte Folded Reload
	;; [unrolled: 2-line block ×3, first 2 shown]
	v_add_f64_e32 v[46:47], v[116:117], v[46:47]
	v_fma_f64 v[116:117], v[76:77], s[48:49], v[150:151]
	v_add_f64_e32 v[32:33], v[128:129], v[32:33]
	v_fma_f64 v[150:151], v[76:77], s[48:49], -v[150:151]
	v_add_f64_e32 v[30:31], v[142:143], v[30:31]
	v_fma_f64 v[142:143], v[78:79], s[12:13], v[120:121]
	v_add_f64_e32 v[0:1], v[148:149], v[0:1]
	v_fma_f64 v[120:121], v[68:69], s[48:49], -v[160:161]
	v_add_f64_e32 v[8:9], v[232:233], v[8:9]
	v_add_f64_e32 v[36:37], v[116:117], v[36:37]
	v_fma_f64 v[116:117], v[76:77], s[20:21], v[104:105]
	v_add_f64_e32 v[32:33], v[88:89], v[32:33]
	v_fma_f64 v[88:89], v[70:71], s[16:17], v[98:99]
	v_add_f64_e32 v[46:47], v[150:151], v[46:47]
	v_add_f64_e32 v[30:31], v[142:143], v[30:31]
	;; [unrolled: 1-line block ×3, first 2 shown]
	v_mul_f64_e32 v[134:135], s[48:49], v[100:101]
	v_add_f64_e32 v[84:85], v[116:117], v[84:85]
	s_delay_alu instid0(VALU_DEP_2) | instskip(SKIP_1) | instid1(VALU_DEP_2)
	v_fma_f64 v[126:127], v[78:79], s[50:51], v[134:135]
	v_fma_f64 v[134:135], v[78:79], s[36:37], v[134:135]
	v_add_f64_e32 v[26:27], v[126:127], v[26:27]
	s_delay_alu instid0(VALU_DEP_2)
	v_add_f64_e32 v[28:29], v[134:135], v[28:29]
	s_wait_loadcnt 0x2
	v_add_f64_e32 v[14:15], v[14:15], v[162:163]
	v_fma_f64 v[162:163], v[78:79], s[46:47], v[90:91]
	s_wait_loadcnt 0x1
	v_add_f64_e32 v[44:45], v[50:51], v[44:45]
	v_add_f64_e32 v[50:51], v[250:251], v[136:137]
	v_fma_f64 v[136:137], v[106:107], s[36:37], v[122:123]
	v_fma_f64 v[122:123], v[106:107], s[50:51], v[122:123]
	v_mul_f64_e32 v[106:107], s[28:29], v[100:101]
	v_fma_f64 v[90:91], v[78:79], s[34:35], v[90:91]
	s_wait_loadcnt 0x0
	v_add_f64_e32 v[34:35], v[14:15], v[34:35]
	scratch_load_b64 v[14:15], off, off offset:32 th:TH_LOAD_LU ; 8-byte Folded Reload
	v_add_f64_e32 v[16:17], v[16:17], v[164:165]
	v_add_f64_e32 v[50:51], v[180:181], v[50:51]
	;; [unrolled: 1-line block ×4, first 2 shown]
	v_mul_f64_e32 v[122:123], s[52:53], v[100:101]
	v_fma_f64 v[140:141], v[78:79], s[2:3], v[106:107]
	v_fma_f64 v[106:107], v[78:79], s[26:27], v[106:107]
	v_mul_f64_e32 v[136:137], s[24:25], v[100:101]
	v_fma_f64 v[164:165], v[76:77], s[40:41], v[94:95]
	v_fma_f64 v[94:95], v[76:77], s[40:41], -v[94:95]
	v_mul_f64_e32 v[100:101], s[20:21], v[100:101]
	v_add_f64_e32 v[12:13], v[90:91], v[12:13]
	v_mul_f64_e32 v[90:91], s[12:13], v[74:75]
	v_add_f64_e32 v[8:9], v[162:163], v[8:9]
	v_add_f64_e32 v[44:45], v[196:197], v[44:45]
	v_add_f64_e32 v[50:51], v[112:113], v[50:51]
	v_add_f64_e32 v[18:19], v[124:125], v[18:19]
	v_add_f64_e32 v[20:21], v[92:93], v[20:21]
	v_fma_f64 v[92:93], v[76:77], s[24:25], v[154:155]
	v_add_f64_e32 v[22:23], v[140:141], v[22:23]
	v_add_f64_e32 v[24:25], v[106:107], v[24:25]
	v_fma_f64 v[106:107], v[78:79], s[54:55], v[122:123]
	v_fma_f64 v[108:109], v[78:79], s[22:23], v[136:137]
	v_add_f64_e32 v[42:43], v[94:95], v[42:43]
	v_fma_f64 v[94:95], v[78:79], s[8:9], v[136:137]
	v_fma_f64 v[112:113], v[78:79], s[38:39], v[122:123]
	;; [unrolled: 1-line block ×3, first 2 shown]
	v_fma_f64 v[76:77], v[76:77], s[20:21], -v[104:105]
	v_fma_f64 v[78:79], v[78:79], s[10:11], v[100:101]
	v_fma_f64 v[100:101], v[68:69], s[48:49], v[160:161]
	;; [unrolled: 1-line block ×4, first 2 shown]
	v_mul_f64_e32 v[124:125], s[44:45], v[72:73]
	v_add_f64_e32 v[44:45], v[166:167], v[44:45]
	v_add_f64_e32 v[50:51], v[86:87], v[50:51]
	v_fma_f64 v[86:87], v[68:69], s[14:15], v[90:91]
	v_fma_f64 v[90:91], v[68:69], s[14:15], -v[90:91]
	v_add_f64_e32 v[56:57], v[92:93], v[56:57]
	v_mul_f64_e32 v[92:93], s[38:39], v[74:75]
	v_add_f64_e32 v[54:55], v[106:107], v[54:55]
	s_clause 0x1
	scratch_load_b64 v[106:107], off, off offset:388 th:TH_LOAD_LU
	scratch_load_b64 v[110:111], off, off offset:404 th:TH_LOAD_LU
	v_add_f64_e32 v[58:59], v[108:109], v[58:59]
	v_add_f64_e32 v[60:61], v[94:95], v[60:61]
	v_mul_f64_e32 v[94:95], s[52:53], v[72:73]
	v_mul_f64_e32 v[108:109], s[24:25], v[72:73]
	v_add_f64_e32 v[52:53], v[112:113], v[52:53]
	v_add_f64_e32 v[0:1], v[118:119], v[0:1]
	;; [unrolled: 1-line block ×4, first 2 shown]
	v_fma_f64 v[4:5], v[70:71], s[12:13], v[98:99]
	v_add_f64_e32 v[78:79], v[100:101], v[6:7]
	v_add_f64_e32 v[98:99], v[104:105], v[8:9]
	v_fma_f64 v[6:7], v[68:69], s[44:45], v[114:115]
	v_add_f64_e32 v[100:101], v[120:121], v[10:11]
	v_add_f64_e32 v[8:9], v[122:123], v[12:13]
	;; [unrolled: 3-line block ×3, first 2 shown]
	v_add_f64_e32 v[86:87], v[88:89], v[22:23]
	v_fma_f64 v[22:23], v[68:69], s[28:29], -v[130:131]
	v_fma_f64 v[88:89], v[70:71], s[26:27], v[132:133]
	v_add_f64_e32 v[38:39], v[90:91], v[38:39]
	v_fma_f64 v[112:113], v[70:71], s[54:55], v[94:95]
	v_fma_f64 v[94:95], v[70:71], s[38:39], v[94:95]
	;; [unrolled: 1-line block ×4, first 2 shown]
	v_add_f64_e32 v[4:5], v[4:5], v[24:25]
	v_add_f64_e32 v[36:37], v[6:7], v[36:37]
	;; [unrolled: 1-line block ×6, first 2 shown]
	s_wait_loadcnt 0x2
	v_add_f64_e32 v[80:81], v[16:17], v[14:15]
	v_mul_f64_e32 v[14:15], s[10:11], v[74:75]
	v_mul_f64_e32 v[16:17], s[20:21], v[72:73]
	;; [unrolled: 1-line block ×4, first 2 shown]
	s_delay_alu instid0(VALU_DEP_4) | instskip(NEXT) | instid1(VALU_DEP_4)
	v_fma_f64 v[126:127], v[68:69], s[20:21], v[14:15]
	v_fma_f64 v[128:129], v[70:71], s[18:19], v[16:17]
	v_fma_f64 v[14:15], v[68:69], s[20:21], -v[14:15]
	v_fma_f64 v[16:17], v[70:71], s[10:11], v[16:17]
	v_fma_f64 v[118:119], v[68:69], s[40:41], v[74:75]
	;; [unrolled: 1-line block ×3, first 2 shown]
	v_add_f64_e32 v[44:45], v[126:127], v[44:45]
	v_add_f64_e32 v[104:105], v[128:129], v[18:19]
	v_fma_f64 v[18:19], v[68:69], s[44:45], -v[114:115]
	v_add_f64_e32 v[42:43], v[14:15], v[42:43]
	v_add_f64_e32 v[10:11], v[16:17], v[20:21]
	v_fma_f64 v[14:15], v[70:71], s[46:47], v[124:125]
	v_fma_f64 v[16:17], v[68:69], s[28:29], v[130:131]
	;; [unrolled: 1-line block ×3, first 2 shown]
	s_wait_loadcnt 0x0
	v_add_f64_e64 v[96:97], v[106:107], -v[110:111]
	v_add_f64_e32 v[106:107], v[106:107], v[110:111]
	v_fma_f64 v[110:111], v[68:69], s[52:53], v[92:93]
	v_fma_f64 v[92:93], v[68:69], s[52:53], -v[92:93]
	v_fma_f64 v[114:115], v[68:69], s[24:25], v[102:103]
	v_fma_f64 v[102:103], v[68:69], s[24:25], -v[102:103]
	v_fma_f64 v[67:68], v[68:69], s[40:41], -v[74:75]
	v_fma_f64 v[69:70], v[70:71], s[30:31], v[72:73]
	s_clause 0x1
	scratch_load_b64 v[73:74], off, off offset:340 th:TH_LOAD_LU
	scratch_load_b64 v[122:123], off, off offset:348 th:TH_LOAD_LU
	v_add_f64_e32 v[46:47], v[18:19], v[46:47]
	v_add_f64_e32 v[6:7], v[14:15], v[28:29]
	;; [unrolled: 1-line block ×4, first 2 shown]
	v_mul_f64_e32 v[90:91], s[2:3], v[96:97]
	v_mul_f64_e32 v[124:125], s[52:53], v[106:107]
	v_mul_f64_e32 v[126:127], s[28:29], v[106:107]
	v_mul_f64_e32 v[128:129], s[36:37], v[96:97]
	v_mul_f64_e32 v[130:131], s[48:49], v[106:107]
	v_mul_f64_e32 v[132:133], s[8:9], v[96:97]
	v_add_f64_e32 v[22:23], v[67:68], v[2:3]
	scratch_load_b64 v[67:68], off, off offset:16 th:TH_LOAD_LU ; 8-byte Folded Reload
	v_mul_f64_e32 v[134:135], s[24:25], v[106:107]
	v_mul_f64_e32 v[26:27], s[34:35], v[96:97]
	;; [unrolled: 1-line block ×8, first 2 shown]
	v_add_f64_e32 v[56:57], v[110:111], v[56:57]
	v_add_f64_e32 v[63:64], v[92:93], v[63:64]
	;; [unrolled: 1-line block ×10, first 2 shown]
	s_wait_loadcnt 0x1
	v_add_f64_e32 v[71:72], v[73:74], v[122:123]
	v_add_f64_e64 v[73:74], v[73:74], -v[122:123]
	v_mul_f64_e32 v[122:123], s[38:39], v[96:97]
	v_mul_f64_e32 v[96:97], s[16:17], v[96:97]
	s_delay_alu instid0(VALU_DEP_4) | instskip(NEXT) | instid1(VALU_DEP_4)
	v_fma_f64 v[54:55], v[71:72], s[28:29], v[90:91]
	v_fma_f64 v[2:3], v[73:74], s[54:55], v[124:125]
	s_delay_alu instid0(VALU_DEP_4)
	v_fma_f64 v[0:1], v[71:72], s[52:53], v[122:123]
	v_fma_f64 v[52:53], v[71:72], s[52:53], -v[122:123]
	v_fma_f64 v[76:77], v[73:74], s[26:27], v[126:127]
	v_fma_f64 v[84:85], v[71:72], s[28:29], -v[90:91]
	v_fma_f64 v[94:95], v[71:72], s[48:49], v[128:129]
	v_fma_f64 v[102:103], v[73:74], s[50:51], v[130:131]
	v_fma_f64 v[108:109], v[71:72], s[48:49], -v[128:129]
	v_fma_f64 v[110:111], v[71:72], s[24:25], v[132:133]
	v_fma_f64 v[112:113], v[73:74], s[22:23], v[134:135]
	v_fma_f64 v[114:115], v[71:72], s[24:25], -v[132:133]
	v_fma_f64 v[116:117], v[71:72], s[44:45], v[26:27]
	v_fma_f64 v[118:119], v[73:74], s[46:47], v[138:139]
	v_fma_f64 v[120:121], v[71:72], s[44:45], -v[26:27]
	v_fma_f64 v[122:123], v[71:72], s[20:21], v[18:19]
	v_fma_f64 v[128:129], v[73:74], s[18:19], v[140:141]
	v_fma_f64 v[132:133], v[71:72], s[20:21], -v[18:19]
	v_fma_f64 v[148:149], v[71:72], s[40:41], v[142:143]
	v_fma_f64 v[150:151], v[73:74], s[42:43], v[144:145]
	v_fma_f64 v[142:143], v[71:72], s[40:41], -v[142:143]
	v_fma_f64 v[152:153], v[71:72], s[14:15], v[96:97]
	v_fma_f64 v[154:155], v[73:74], s[12:13], v[106:107]
	v_fma_f64 v[70:71], v[71:72], s[14:15], -v[96:97]
	v_fma_f64 v[106:107], v[73:74], s[16:17], v[106:107]
	v_fma_f64 v[144:145], v[73:74], s[30:31], v[144:145]
	v_fma_f64 v[140:141], v[73:74], s[10:11], v[140:141]
	;; [unrolled: 1-line block ×7, first 2 shown]
	s_wait_loadcnt 0x0
	v_add_f64_e32 v[72:73], v[34:35], v[67:68]
	scratch_load_b64 v[34:35], off, off th:TH_LOAD_LU ; 8-byte Folded Reload
	s_mov_b32 s2, 0xda71079e
	s_mov_b32 s3, 0x3f46ad43
	v_add_f64_e32 v[88:89], v[54:55], v[44:45]
	v_add_f64_e32 v[82:83], v[2:3], v[98:99]
	;; [unrolled: 1-line block ×25, first 2 shown]
	s_wait_loadcnt 0x0
	v_add_f64_e32 v[74:75], v[80:81], v[34:35]
	v_add_f64_e32 v[80:81], v[0:1], v[78:79]
	;; [unrolled: 1-line block ×8, first 2 shown]
	ds_store_b128 v62, v[72:75]
	ds_store_b128 v62, v[80:83] offset:1360
	ds_store_b128 v62, v[88:91] offset:2720
	;; [unrolled: 1-line block ×16, first 2 shown]
	global_wb scope:SCOPE_SE
	s_wait_storecnt_dscnt 0x0
	s_barrier_signal -1
	s_barrier_wait -1
	global_inv scope:SCOPE_SE
	ds_load_b128 v[0:3], v62
	ds_load_b128 v[4:7], v62 offset:1360
	s_clause 0x2
	scratch_load_b128 v[22:25], off, off offset:236 th:TH_LOAD_LU
	scratch_load_b128 v[51:54], off, off offset:172 th:TH_LOAD_LU
	;; [unrolled: 1-line block ×3, first 2 shown]
	ds_load_b128 v[8:11], v62 offset:2720
	s_wait_loadcnt_dscnt 0x202
	v_mul_f64_e32 v[12:13], v[24:25], v[2:3]
	v_mul_f64_e32 v[14:15], v[24:25], v[0:1]
	s_wait_loadcnt_dscnt 0x1
	v_mul_f64_e32 v[16:17], v[28:29], v[6:7]
	v_mul_f64_e32 v[18:19], v[28:29], v[4:5]
	s_delay_alu instid0(VALU_DEP_4) | instskip(NEXT) | instid1(VALU_DEP_4)
	v_fma_f64 v[20:21], v[22:23], v[0:1], v[12:13]
	v_fma_f64 v[22:23], v[22:23], v[2:3], -v[14:15]
	ds_load_b128 v[0:3], v62 offset:4080
	v_fma_f64 v[24:25], v[26:27], v[4:5], v[16:17]
	v_fma_f64 v[26:27], v[26:27], v[6:7], -v[18:19]
	s_wait_dscnt 0x1
	v_mul_f64_e32 v[28:29], v[53:54], v[10:11]
	v_mul_f64_e32 v[30:31], v[53:54], v[8:9]
	ds_load_b128 v[4:7], v62 offset:5440
	ds_load_b128 v[12:15], v62 offset:6800
	s_clause 0x3
	scratch_load_b128 v[53:56], off, off offset:220 th:TH_LOAD_LU
	scratch_load_b64 v[16:17], off, off offset:112 th:TH_LOAD_LU
	scratch_load_b32 v50, off, off offset:120 th:TH_LOAD_LU
	scratch_load_b128 v[63:66], off, off offset:268 th:TH_LOAD_LU
	s_wait_alu 0xfffe
	v_mul_f64_e32 v[18:19], s[2:3], v[22:23]
	v_mul_f64_e32 v[22:23], s[2:3], v[26:27]
	v_fma_f64 v[26:27], v[51:52], v[10:11], -v[30:31]
	s_wait_loadcnt_dscnt 0x302
	v_mul_f64_e32 v[34:35], v[55:56], v[2:3]
	v_mul_f64_e32 v[36:37], v[55:56], v[0:1]
	scratch_load_b128 v[56:59], off, off offset:204 th:TH_LOAD_LU ; 16-byte Folded Reload
	s_wait_loadcnt 0x3
	v_mov_b32_e32 v17, v16
	s_wait_loadcnt 0x2
	v_mad_co_u64_u32 v[38:39], null, s4, v50, 0
	s_wait_loadcnt_dscnt 0x100
	v_mul_f64_e32 v[44:45], v[65:66], v[14:15]
	v_mul_f64_e32 v[46:47], v[65:66], v[12:13]
	v_mad_co_u64_u32 v[32:33], null, s6, v17, 0
	s_delay_alu instid0(VALU_DEP_1) | instskip(NEXT) | instid1(VALU_DEP_1)
	v_dual_mov_b32 v16, v33 :: v_dual_mov_b32 v33, v39
	v_mad_co_u64_u32 v[48:49], null, s7, v17, v[16:17]
	v_mul_f64_e32 v[16:17], s[2:3], v[20:21]
	v_mul_f64_e32 v[20:21], s[2:3], v[24:25]
	v_fma_f64 v[24:25], v[51:52], v[8:9], v[28:29]
	v_mad_co_u64_u32 v[49:50], null, s5, v50, v[33:34]
	v_mov_b32_e32 v33, v48
	s_delay_alu instid0(VALU_DEP_1) | instskip(NEXT) | instid1(VALU_DEP_3)
	v_lshlrev_b64_e32 v[8:9], 4, v[32:33]
	v_mov_b32_e32 v39, v49
	v_fma_f64 v[48:49], v[53:54], v[0:1], v[34:35]
	v_fma_f64 v[52:53], v[53:54], v[2:3], -v[36:37]
	ds_load_b128 v[0:3], v62 offset:8160
	v_fma_f64 v[60:61], v[63:64], v[14:15], -v[46:47]
	v_lshlrev_b64_e32 v[10:11], 4, v[38:39]
	v_add_co_u32 v8, vcc_lo, s0, v8
	s_wait_alu 0xfffd
	v_add_co_ci_u32_e32 v9, vcc_lo, s1, v9, vcc_lo
	s_mul_u64 s[0:1], s[4:5], 0x550
	s_delay_alu instid0(VALU_DEP_2) | instskip(SKIP_1) | instid1(VALU_DEP_2)
	v_add_co_u32 v28, vcc_lo, v8, v10
	s_wait_alu 0xfffd
	v_add_co_ci_u32_e32 v29, vcc_lo, v9, v11, vcc_lo
	ds_load_b128 v[8:11], v62 offset:9520
	s_wait_alu 0xfffe
	v_add_co_u32 v32, vcc_lo, v28, s0
	s_wait_alu 0xfffd
	v_add_co_ci_u32_e32 v33, vcc_lo, s1, v29, vcc_lo
	v_mul_f64_e32 v[14:15], s[2:3], v[26:27]
	s_delay_alu instid0(VALU_DEP_3) | instskip(SKIP_1) | instid1(VALU_DEP_3)
	v_add_co_u32 v71, vcc_lo, v32, s0
	s_wait_alu 0xfffd
	v_add_co_ci_u32_e32 v72, vcc_lo, s1, v33, vcc_lo
	v_mul_f64_e32 v[46:47], s[2:3], v[52:53]
	s_wait_loadcnt 0x0
	v_mul_f64_e32 v[40:41], v[58:59], v[6:7]
	v_mul_f64_e32 v[42:43], v[58:59], v[4:5]
	v_fma_f64 v[58:59], v[63:64], v[12:13], v[44:45]
	v_mul_f64_e32 v[12:13], s[2:3], v[24:25]
	v_mul_f64_e32 v[44:45], s[2:3], v[48:49]
	v_fma_f64 v[54:55], v[56:57], v[4:5], v[40:41]
	v_fma_f64 v[56:57], v[56:57], v[6:7], -v[42:43]
	ds_load_b128 v[4:7], v62 offset:10880
	s_clause 0x1
	global_store_b128 v[28:29], v[16:19], off
	global_store_b128 v[32:33], v[20:23], off
	scratch_load_b128 v[107:110], off, off offset:48 th:TH_LOAD_LU ; 16-byte Folded Reload
	ds_load_b128 v[16:19], v62 offset:12240
	ds_load_b128 v[20:23], v62 offset:13600
	v_mul_f64_e32 v[52:53], s[2:3], v[54:55]
	v_mul_f64_e32 v[54:55], s[2:3], v[56:57]
	;; [unrolled: 1-line block ×4, first 2 shown]
	s_wait_loadcnt_dscnt 0x4
	v_mul_f64_e32 v[63:64], v[109:110], v[2:3]
	v_mul_f64_e32 v[65:66], v[109:110], v[0:1]
	scratch_load_b128 v[109:112], off, off offset:64 th:TH_LOAD_LU ; 16-byte Folded Reload
	ds_load_b128 v[24:27], v62 offset:14960
	ds_load_b128 v[28:31], v62 offset:16320
	;; [unrolled: 1-line block ×6, first 2 shown]
	v_add_co_u32 v62, vcc_lo, v71, s0
	v_fma_f64 v[0:1], v[107:108], v[0:1], v[63:64]
	v_fma_f64 v[2:3], v[107:108], v[2:3], -v[65:66]
	s_wait_alu 0xfffd
	v_add_co_ci_u32_e32 v63, vcc_lo, s1, v72, vcc_lo
	v_add_co_u32 v64, vcc_lo, v62, s0
	s_wait_alu 0xfffd
	s_delay_alu instid0(VALU_DEP_2)
	v_add_co_ci_u32_e32 v65, vcc_lo, s1, v63, vcc_lo
	v_mul_f64_e32 v[0:1], s[2:3], v[0:1]
	v_mul_f64_e32 v[2:3], s[2:3], v[2:3]
	s_wait_loadcnt_dscnt 0x9
	v_mul_f64_e32 v[67:68], v[111:112], v[10:11]
	v_mul_f64_e32 v[69:70], v[111:112], v[8:9]
	scratch_load_b128 v[111:114], off, off offset:80 th:TH_LOAD_LU ; 16-byte Folded Reload
	v_fma_f64 v[8:9], v[109:110], v[8:9], v[67:68]
	v_fma_f64 v[10:11], v[109:110], v[10:11], -v[69:70]
	s_wait_loadcnt_dscnt 0x8
	v_mul_f64_e32 v[73:74], v[113:114], v[6:7]
	v_mul_f64_e32 v[75:76], v[113:114], v[4:5]
	scratch_load_b128 v[113:116], off, off offset:96 th:TH_LOAD_LU ; 16-byte Folded Reload
	v_fma_f64 v[66:67], v[111:112], v[4:5], v[73:74]
	v_fma_f64 v[68:69], v[111:112], v[6:7], -v[75:76]
	v_add_co_u32 v4, vcc_lo, v64, s0
	s_wait_alu 0xfffd
	v_add_co_ci_u32_e32 v5, vcc_lo, s1, v65, vcc_lo
	v_mul_f64_e32 v[6:7], s[2:3], v[10:11]
	s_delay_alu instid0(VALU_DEP_4)
	v_mul_f64_e32 v[10:11], s[2:3], v[68:69]
	s_wait_loadcnt_dscnt 0x7
	v_mul_f64_e32 v[77:78], v[115:116], v[18:19]
	v_mul_f64_e32 v[79:80], v[115:116], v[16:17]
	scratch_load_b128 v[115:118], off, off offset:124 th:TH_LOAD_LU ; 16-byte Folded Reload
	v_fma_f64 v[16:17], v[113:114], v[16:17], v[77:78]
	v_fma_f64 v[18:19], v[113:114], v[18:19], -v[79:80]
	s_wait_loadcnt_dscnt 0x6
	v_mul_f64_e32 v[81:82], v[117:118], v[22:23]
	v_mul_f64_e32 v[83:84], v[117:118], v[20:21]
	scratch_load_b128 v[117:120], off, off offset:140 th:TH_LOAD_LU ; 16-byte Folded Reload
	v_fma_f64 v[20:21], v[115:116], v[20:21], v[81:82]
	v_fma_f64 v[22:23], v[115:116], v[22:23], -v[83:84]
	;; [unrolled: 6-line block ×6, first 2 shown]
	s_wait_loadcnt_dscnt 0x1
	v_mul_f64_e32 v[99:100], v[127:128], v[42:43]
	v_mul_f64_e32 v[101:102], v[127:128], v[40:41]
	scratch_load_b128 v[127:130], off, off offset:316 th:TH_LOAD_LU ; 16-byte Folded Reload
	s_clause 0x2
	global_store_b128 v[71:72], v[12:15], off
	global_store_b128 v[62:63], v[44:47], off
	;; [unrolled: 1-line block ×4, first 2 shown]
	v_mul_f64_e32 v[12:13], s[2:3], v[16:17]
	v_mul_f64_e32 v[14:15], s[2:3], v[18:19]
	;; [unrolled: 1-line block ×12, first 2 shown]
	v_fma_f64 v[40:41], v[125:126], v[40:41], v[99:100]
	v_fma_f64 v[42:43], v[125:126], v[42:43], -v[101:102]
	s_delay_alu instid0(VALU_DEP_2) | instskip(NEXT) | instid1(VALU_DEP_2)
	v_mul_f64_e32 v[36:37], s[2:3], v[40:41]
	v_mul_f64_e32 v[38:39], s[2:3], v[42:43]
	s_wait_loadcnt_dscnt 0x0
	v_mul_f64_e32 v[103:104], v[129:130], v[50:51]
	v_mul_f64_e32 v[105:106], v[129:130], v[48:49]
	s_delay_alu instid0(VALU_DEP_2) | instskip(NEXT) | instid1(VALU_DEP_2)
	v_fma_f64 v[44:45], v[127:128], v[48:49], v[103:104]
	v_fma_f64 v[46:47], v[127:128], v[50:51], -v[105:106]
	v_add_co_u32 v48, vcc_lo, v4, s0
	s_wait_alu 0xfffd
	v_add_co_ci_u32_e32 v49, vcc_lo, s1, v5, vcc_lo
	v_mul_f64_e32 v[4:5], s[2:3], v[8:9]
	s_delay_alu instid0(VALU_DEP_3) | instskip(SKIP_1) | instid1(VALU_DEP_3)
	v_add_co_u32 v50, vcc_lo, v48, s0
	s_wait_alu 0xfffd
	v_add_co_ci_u32_e32 v51, vcc_lo, s1, v49, vcc_lo
	v_mul_f64_e32 v[8:9], s[2:3], v[66:67]
	s_delay_alu instid0(VALU_DEP_3) | instskip(SKIP_1) | instid1(VALU_DEP_3)
	v_add_co_u32 v52, vcc_lo, v50, s0
	s_wait_alu 0xfffd
	v_add_co_ci_u32_e32 v53, vcc_lo, s1, v51, vcc_lo
	global_store_b128 v[48:49], v[0:3], off
	v_add_co_u32 v54, vcc_lo, v52, s0
	s_wait_alu 0xfffd
	v_add_co_ci_u32_e32 v55, vcc_lo, s1, v53, vcc_lo
	v_mul_f64_e32 v[40:41], s[2:3], v[44:45]
	v_mul_f64_e32 v[42:43], s[2:3], v[46:47]
	v_add_co_u32 v44, vcc_lo, v54, s0
	s_wait_alu 0xfffd
	v_add_co_ci_u32_e32 v45, vcc_lo, s1, v55, vcc_lo
	global_store_b128 v[50:51], v[4:7], off
	v_add_co_u32 v0, vcc_lo, v44, s0
	s_wait_alu 0xfffd
	v_add_co_ci_u32_e32 v1, vcc_lo, s1, v45, vcc_lo
	global_store_b128 v[52:53], v[8:11], off
	;; [unrolled: 4-line block ×5, first 2 shown]
	v_add_co_u32 v8, vcc_lo, v6, s0
	s_wait_alu 0xfffd
	v_add_co_ci_u32_e32 v9, vcc_lo, s1, v7, vcc_lo
	s_delay_alu instid0(VALU_DEP_2) | instskip(SKIP_1) | instid1(VALU_DEP_2)
	v_add_co_u32 v0, vcc_lo, v8, s0
	s_wait_alu 0xfffd
	v_add_co_ci_u32_e32 v1, vcc_lo, s1, v9, vcc_lo
	global_store_b128 v[2:3], v[24:27], off
	global_store_b128 v[4:5], v[28:31], off
	global_store_b128 v[6:7], v[32:35], off
	global_store_b128 v[8:9], v[36:39], off
	global_store_b128 v[0:1], v[40:43], off
.LBB0_10:
	s_nop 0
	s_sendmsg sendmsg(MSG_DEALLOC_VGPRS)
	s_endpgm
	.section	.rodata,"a",@progbits
	.p2align	6, 0x0
	.amdhsa_kernel bluestein_single_fwd_len1445_dim1_dp_op_CI_CI
		.amdhsa_group_segment_fixed_size 23120
		.amdhsa_private_segment_fixed_size 480
		.amdhsa_kernarg_size 104
		.amdhsa_user_sgpr_count 2
		.amdhsa_user_sgpr_dispatch_ptr 0
		.amdhsa_user_sgpr_queue_ptr 0
		.amdhsa_user_sgpr_kernarg_segment_ptr 1
		.amdhsa_user_sgpr_dispatch_id 0
		.amdhsa_user_sgpr_private_segment_size 0
		.amdhsa_wavefront_size32 1
		.amdhsa_uses_dynamic_stack 0
		.amdhsa_enable_private_segment 1
		.amdhsa_system_sgpr_workgroup_id_x 1
		.amdhsa_system_sgpr_workgroup_id_y 0
		.amdhsa_system_sgpr_workgroup_id_z 0
		.amdhsa_system_sgpr_workgroup_info 0
		.amdhsa_system_vgpr_workitem_id 0
		.amdhsa_next_free_vgpr 256
		.amdhsa_next_free_sgpr 58
		.amdhsa_reserve_vcc 1
		.amdhsa_float_round_mode_32 0
		.amdhsa_float_round_mode_16_64 0
		.amdhsa_float_denorm_mode_32 3
		.amdhsa_float_denorm_mode_16_64 3
		.amdhsa_fp16_overflow 0
		.amdhsa_workgroup_processor_mode 1
		.amdhsa_memory_ordered 1
		.amdhsa_forward_progress 0
		.amdhsa_round_robin_scheduling 0
		.amdhsa_exception_fp_ieee_invalid_op 0
		.amdhsa_exception_fp_denorm_src 0
		.amdhsa_exception_fp_ieee_div_zero 0
		.amdhsa_exception_fp_ieee_overflow 0
		.amdhsa_exception_fp_ieee_underflow 0
		.amdhsa_exception_fp_ieee_inexact 0
		.amdhsa_exception_int_div_zero 0
	.end_amdhsa_kernel
	.text
.Lfunc_end0:
	.size	bluestein_single_fwd_len1445_dim1_dp_op_CI_CI, .Lfunc_end0-bluestein_single_fwd_len1445_dim1_dp_op_CI_CI
                                        ; -- End function
	.section	.AMDGPU.csdata,"",@progbits
; Kernel info:
; codeLenInByte = 32296
; NumSgprs: 60
; NumVgprs: 256
; ScratchSize: 480
; MemoryBound: 0
; FloatMode: 240
; IeeeMode: 1
; LDSByteSize: 23120 bytes/workgroup (compile time only)
; SGPRBlocks: 7
; VGPRBlocks: 31
; NumSGPRsForWavesPerEU: 60
; NumVGPRsForWavesPerEU: 256
; Occupancy: 4
; WaveLimiterHint : 1
; COMPUTE_PGM_RSRC2:SCRATCH_EN: 1
; COMPUTE_PGM_RSRC2:USER_SGPR: 2
; COMPUTE_PGM_RSRC2:TRAP_HANDLER: 0
; COMPUTE_PGM_RSRC2:TGID_X_EN: 1
; COMPUTE_PGM_RSRC2:TGID_Y_EN: 0
; COMPUTE_PGM_RSRC2:TGID_Z_EN: 0
; COMPUTE_PGM_RSRC2:TIDIG_COMP_CNT: 0
	.text
	.p2alignl 7, 3214868480
	.fill 96, 4, 3214868480
	.type	__hip_cuid_bea0053740d87109,@object ; @__hip_cuid_bea0053740d87109
	.section	.bss,"aw",@nobits
	.globl	__hip_cuid_bea0053740d87109
__hip_cuid_bea0053740d87109:
	.byte	0                               ; 0x0
	.size	__hip_cuid_bea0053740d87109, 1

	.ident	"AMD clang version 19.0.0git (https://github.com/RadeonOpenCompute/llvm-project roc-6.4.0 25133 c7fe45cf4b819c5991fe208aaa96edf142730f1d)"
	.section	".note.GNU-stack","",@progbits
	.addrsig
	.addrsig_sym __hip_cuid_bea0053740d87109
	.amdgpu_metadata
---
amdhsa.kernels:
  - .args:
      - .actual_access:  read_only
        .address_space:  global
        .offset:         0
        .size:           8
        .value_kind:     global_buffer
      - .actual_access:  read_only
        .address_space:  global
        .offset:         8
        .size:           8
        .value_kind:     global_buffer
      - .actual_access:  read_only
        .address_space:  global
        .offset:         16
        .size:           8
        .value_kind:     global_buffer
      - .actual_access:  read_only
        .address_space:  global
        .offset:         24
        .size:           8
        .value_kind:     global_buffer
      - .actual_access:  read_only
        .address_space:  global
        .offset:         32
        .size:           8
        .value_kind:     global_buffer
      - .offset:         40
        .size:           8
        .value_kind:     by_value
      - .address_space:  global
        .offset:         48
        .size:           8
        .value_kind:     global_buffer
      - .address_space:  global
        .offset:         56
        .size:           8
        .value_kind:     global_buffer
      - .address_space:  global
        .offset:         64
        .size:           8
        .value_kind:     global_buffer
      - .address_space:  global
        .offset:         72
        .size:           8
        .value_kind:     global_buffer
      - .offset:         80
        .size:           4
        .value_kind:     by_value
      - .address_space:  global
        .offset:         88
        .size:           8
        .value_kind:     global_buffer
      - .address_space:  global
        .offset:         96
        .size:           8
        .value_kind:     global_buffer
    .group_segment_fixed_size: 23120
    .kernarg_segment_align: 8
    .kernarg_segment_size: 104
    .language:       OpenCL C
    .language_version:
      - 2
      - 0
    .max_flat_workgroup_size: 85
    .name:           bluestein_single_fwd_len1445_dim1_dp_op_CI_CI
    .private_segment_fixed_size: 480
    .sgpr_count:     60
    .sgpr_spill_count: 0
    .symbol:         bluestein_single_fwd_len1445_dim1_dp_op_CI_CI.kd
    .uniform_work_group_size: 1
    .uses_dynamic_stack: false
    .vgpr_count:     256
    .vgpr_spill_count: 148
    .wavefront_size: 32
    .workgroup_processor_mode: 1
amdhsa.target:   amdgcn-amd-amdhsa--gfx1201
amdhsa.version:
  - 1
  - 2
...

	.end_amdgpu_metadata
